;; amdgpu-corpus repo=ROCm/rocFFT kind=compiled arch=gfx906 opt=O3
	.text
	.amdgcn_target "amdgcn-amd-amdhsa--gfx906"
	.amdhsa_code_object_version 6
	.protected	fft_rtc_back_len1248_factors_2_2_13_2_3_2_2_wgs_52_tpt_52_halfLds_dp_op_CI_CI_unitstride_sbrr_C2R_dirReg ; -- Begin function fft_rtc_back_len1248_factors_2_2_13_2_3_2_2_wgs_52_tpt_52_halfLds_dp_op_CI_CI_unitstride_sbrr_C2R_dirReg
	.globl	fft_rtc_back_len1248_factors_2_2_13_2_3_2_2_wgs_52_tpt_52_halfLds_dp_op_CI_CI_unitstride_sbrr_C2R_dirReg
	.p2align	8
	.type	fft_rtc_back_len1248_factors_2_2_13_2_3_2_2_wgs_52_tpt_52_halfLds_dp_op_CI_CI_unitstride_sbrr_C2R_dirReg,@function
fft_rtc_back_len1248_factors_2_2_13_2_3_2_2_wgs_52_tpt_52_halfLds_dp_op_CI_CI_unitstride_sbrr_C2R_dirReg: ; @fft_rtc_back_len1248_factors_2_2_13_2_3_2_2_wgs_52_tpt_52_halfLds_dp_op_CI_CI_unitstride_sbrr_C2R_dirReg
; %bb.0:
	s_load_dwordx4 s[8:11], s[4:5], 0x58
	s_load_dwordx4 s[12:15], s[4:5], 0x0
	;; [unrolled: 1-line block ×3, first 2 shown]
	v_mul_u32_u24_e32 v1, 0x4ed, v0
	v_add_u32_sdwa v5, s6, v1 dst_sel:DWORD dst_unused:UNUSED_PAD src0_sel:DWORD src1_sel:WORD_1
	v_mov_b32_e32 v3, 0
	s_waitcnt lgkmcnt(0)
	v_cmp_lt_u64_e64 s[0:1], s[14:15], 2
	v_mov_b32_e32 v1, 0
	v_mov_b32_e32 v6, v3
	s_and_b64 vcc, exec, s[0:1]
	v_mov_b32_e32 v2, 0
	s_cbranch_vccnz .LBB0_8
; %bb.1:
	s_load_dwordx2 s[0:1], s[4:5], 0x10
	s_add_u32 s2, s18, 8
	s_addc_u32 s3, s19, 0
	s_add_u32 s6, s16, 8
	v_mov_b32_e32 v1, 0
	s_addc_u32 s7, s17, 0
	v_mov_b32_e32 v2, 0
	s_waitcnt lgkmcnt(0)
	s_add_u32 s20, s0, 8
	v_mov_b32_e32 v153, v2
	s_addc_u32 s21, s1, 0
	s_mov_b64 s[22:23], 1
	v_mov_b32_e32 v152, v1
.LBB0_2:                                ; =>This Inner Loop Header: Depth=1
	s_load_dwordx2 s[24:25], s[20:21], 0x0
                                        ; implicit-def: $vgpr156_vgpr157
	s_waitcnt lgkmcnt(0)
	v_or_b32_e32 v4, s25, v6
	v_cmp_ne_u64_e32 vcc, 0, v[3:4]
	s_and_saveexec_b64 s[0:1], vcc
	s_xor_b64 s[26:27], exec, s[0:1]
	s_cbranch_execz .LBB0_4
; %bb.3:                                ;   in Loop: Header=BB0_2 Depth=1
	v_cvt_f32_u32_e32 v4, s24
	v_cvt_f32_u32_e32 v7, s25
	s_sub_u32 s0, 0, s24
	s_subb_u32 s1, 0, s25
	v_mac_f32_e32 v4, 0x4f800000, v7
	v_rcp_f32_e32 v4, v4
	v_mul_f32_e32 v4, 0x5f7ffffc, v4
	v_mul_f32_e32 v7, 0x2f800000, v4
	v_trunc_f32_e32 v7, v7
	v_mac_f32_e32 v4, 0xcf800000, v7
	v_cvt_u32_f32_e32 v7, v7
	v_cvt_u32_f32_e32 v4, v4
	v_mul_lo_u32 v8, s0, v7
	v_mul_hi_u32 v9, s0, v4
	v_mul_lo_u32 v11, s1, v4
	v_mul_lo_u32 v10, s0, v4
	v_add_u32_e32 v8, v9, v8
	v_add_u32_e32 v8, v8, v11
	v_mul_hi_u32 v9, v4, v10
	v_mul_lo_u32 v11, v4, v8
	v_mul_hi_u32 v13, v4, v8
	v_mul_hi_u32 v12, v7, v10
	v_mul_lo_u32 v10, v7, v10
	v_mul_hi_u32 v14, v7, v8
	v_add_co_u32_e32 v9, vcc, v9, v11
	v_addc_co_u32_e32 v11, vcc, 0, v13, vcc
	v_mul_lo_u32 v8, v7, v8
	v_add_co_u32_e32 v9, vcc, v9, v10
	v_addc_co_u32_e32 v9, vcc, v11, v12, vcc
	v_addc_co_u32_e32 v10, vcc, 0, v14, vcc
	v_add_co_u32_e32 v8, vcc, v9, v8
	v_addc_co_u32_e32 v9, vcc, 0, v10, vcc
	v_add_co_u32_e32 v4, vcc, v4, v8
	v_addc_co_u32_e32 v7, vcc, v7, v9, vcc
	v_mul_lo_u32 v8, s0, v7
	v_mul_hi_u32 v9, s0, v4
	v_mul_lo_u32 v10, s1, v4
	v_mul_lo_u32 v11, s0, v4
	v_add_u32_e32 v8, v9, v8
	v_add_u32_e32 v8, v8, v10
	v_mul_lo_u32 v12, v4, v8
	v_mul_hi_u32 v13, v4, v11
	v_mul_hi_u32 v14, v4, v8
	v_mul_hi_u32 v10, v7, v11
	v_mul_lo_u32 v11, v7, v11
	v_mul_hi_u32 v9, v7, v8
	v_add_co_u32_e32 v12, vcc, v13, v12
	v_addc_co_u32_e32 v13, vcc, 0, v14, vcc
	v_mul_lo_u32 v8, v7, v8
	v_add_co_u32_e32 v11, vcc, v12, v11
	v_addc_co_u32_e32 v10, vcc, v13, v10, vcc
	v_addc_co_u32_e32 v9, vcc, 0, v9, vcc
	v_add_co_u32_e32 v8, vcc, v10, v8
	v_addc_co_u32_e32 v9, vcc, 0, v9, vcc
	v_add_co_u32_e32 v4, vcc, v4, v8
	v_addc_co_u32_e32 v9, vcc, v7, v9, vcc
	v_mad_u64_u32 v[7:8], s[0:1], v5, v9, 0
	v_mul_hi_u32 v10, v5, v4
	v_add_co_u32_e32 v11, vcc, v10, v7
	v_addc_co_u32_e32 v12, vcc, 0, v8, vcc
	v_mad_u64_u32 v[7:8], s[0:1], v6, v4, 0
	v_mad_u64_u32 v[9:10], s[0:1], v6, v9, 0
	v_add_co_u32_e32 v4, vcc, v11, v7
	v_addc_co_u32_e32 v4, vcc, v12, v8, vcc
	v_addc_co_u32_e32 v7, vcc, 0, v10, vcc
	v_add_co_u32_e32 v4, vcc, v4, v9
	v_addc_co_u32_e32 v9, vcc, 0, v7, vcc
	v_mul_lo_u32 v10, s25, v4
	v_mul_lo_u32 v11, s24, v9
	v_mad_u64_u32 v[7:8], s[0:1], s24, v4, 0
	v_add3_u32 v8, v8, v11, v10
	v_sub_u32_e32 v10, v6, v8
	v_mov_b32_e32 v11, s25
	v_sub_co_u32_e32 v7, vcc, v5, v7
	v_subb_co_u32_e64 v10, s[0:1], v10, v11, vcc
	v_subrev_co_u32_e64 v11, s[0:1], s24, v7
	v_subbrev_co_u32_e64 v10, s[0:1], 0, v10, s[0:1]
	v_cmp_le_u32_e64 s[0:1], s25, v10
	v_cndmask_b32_e64 v12, 0, -1, s[0:1]
	v_cmp_le_u32_e64 s[0:1], s24, v11
	v_cndmask_b32_e64 v11, 0, -1, s[0:1]
	v_cmp_eq_u32_e64 s[0:1], s25, v10
	v_cndmask_b32_e64 v10, v12, v11, s[0:1]
	v_add_co_u32_e64 v11, s[0:1], 2, v4
	v_addc_co_u32_e64 v12, s[0:1], 0, v9, s[0:1]
	v_add_co_u32_e64 v13, s[0:1], 1, v4
	v_addc_co_u32_e64 v14, s[0:1], 0, v9, s[0:1]
	v_subb_co_u32_e32 v8, vcc, v6, v8, vcc
	v_cmp_ne_u32_e64 s[0:1], 0, v10
	v_cmp_le_u32_e32 vcc, s25, v8
	v_cndmask_b32_e64 v10, v14, v12, s[0:1]
	v_cndmask_b32_e64 v12, 0, -1, vcc
	v_cmp_le_u32_e32 vcc, s24, v7
	v_cndmask_b32_e64 v7, 0, -1, vcc
	v_cmp_eq_u32_e32 vcc, s25, v8
	v_cndmask_b32_e32 v7, v12, v7, vcc
	v_cmp_ne_u32_e32 vcc, 0, v7
	v_cndmask_b32_e64 v7, v13, v11, s[0:1]
	v_cndmask_b32_e32 v157, v9, v10, vcc
	v_cndmask_b32_e32 v156, v4, v7, vcc
.LBB0_4:                                ;   in Loop: Header=BB0_2 Depth=1
	s_andn2_saveexec_b64 s[0:1], s[26:27]
	s_cbranch_execz .LBB0_6
; %bb.5:                                ;   in Loop: Header=BB0_2 Depth=1
	v_cvt_f32_u32_e32 v4, s24
	s_sub_i32 s26, 0, s24
	v_mov_b32_e32 v157, v3
	v_rcp_iflag_f32_e32 v4, v4
	v_mul_f32_e32 v4, 0x4f7ffffe, v4
	v_cvt_u32_f32_e32 v4, v4
	v_mul_lo_u32 v7, s26, v4
	v_mul_hi_u32 v7, v4, v7
	v_add_u32_e32 v4, v4, v7
	v_mul_hi_u32 v4, v5, v4
	v_mul_lo_u32 v7, v4, s24
	v_add_u32_e32 v8, 1, v4
	v_sub_u32_e32 v7, v5, v7
	v_subrev_u32_e32 v9, s24, v7
	v_cmp_le_u32_e32 vcc, s24, v7
	v_cndmask_b32_e32 v7, v7, v9, vcc
	v_cndmask_b32_e32 v4, v4, v8, vcc
	v_add_u32_e32 v8, 1, v4
	v_cmp_le_u32_e32 vcc, s24, v7
	v_cndmask_b32_e32 v156, v4, v8, vcc
.LBB0_6:                                ;   in Loop: Header=BB0_2 Depth=1
	s_or_b64 exec, exec, s[0:1]
	v_mul_lo_u32 v4, v157, s24
	v_mul_lo_u32 v9, v156, s25
	v_mad_u64_u32 v[7:8], s[0:1], v156, s24, 0
	s_load_dwordx2 s[0:1], s[6:7], 0x0
	s_load_dwordx2 s[24:25], s[2:3], 0x0
	v_add3_u32 v4, v8, v9, v4
	v_sub_co_u32_e32 v5, vcc, v5, v7
	v_subb_co_u32_e32 v4, vcc, v6, v4, vcc
	s_waitcnt lgkmcnt(0)
	v_mul_lo_u32 v6, s0, v4
	v_mul_lo_u32 v7, s1, v5
	v_mad_u64_u32 v[1:2], s[0:1], s0, v5, v[1:2]
	v_mul_lo_u32 v4, s24, v4
	v_mul_lo_u32 v8, s25, v5
	v_mad_u64_u32 v[152:153], s[0:1], s24, v5, v[152:153]
	s_add_u32 s22, s22, 1
	s_addc_u32 s23, s23, 0
	s_add_u32 s2, s2, 8
	v_add3_u32 v153, v8, v153, v4
	s_addc_u32 s3, s3, 0
	v_mov_b32_e32 v4, s14
	s_add_u32 s6, s6, 8
	v_mov_b32_e32 v5, s15
	s_addc_u32 s7, s7, 0
	v_cmp_ge_u64_e32 vcc, s[22:23], v[4:5]
	s_add_u32 s20, s20, 8
	v_add3_u32 v2, v7, v2, v6
	s_addc_u32 s21, s21, 0
	s_cbranch_vccnz .LBB0_9
; %bb.7:                                ;   in Loop: Header=BB0_2 Depth=1
	v_mov_b32_e32 v5, v156
	v_mov_b32_e32 v6, v157
	s_branch .LBB0_2
.LBB0_8:
	v_mov_b32_e32 v153, v2
	v_mov_b32_e32 v157, v6
	;; [unrolled: 1-line block ×4, first 2 shown]
.LBB0_9:
	s_load_dwordx2 s[4:5], s[4:5], 0x28
	s_lshl_b64 s[6:7], s[14:15], 3
	s_add_u32 s2, s18, s6
	s_addc_u32 s3, s19, s7
                                        ; implicit-def: $vgpr154
                                        ; implicit-def: $vgpr4_vgpr5
	s_waitcnt lgkmcnt(0)
	v_cmp_gt_u64_e64 s[0:1], s[4:5], v[156:157]
	v_cmp_le_u64_e32 vcc, s[4:5], v[156:157]
	s_and_saveexec_b64 s[4:5], vcc
	s_xor_b64 s[4:5], exec, s[4:5]
; %bb.10:
	s_mov_b32 s14, 0x4ec4ec5
	v_mul_hi_u32 v1, v0, s14
	v_mov_b32_e32 v155, 0
	v_mul_u32_u24_e32 v1, 52, v1
	v_sub_u32_e32 v154, v0, v1
	v_mov_b32_e32 v4, v154
	v_mov_b32_e32 v5, v155
                                        ; implicit-def: $vgpr0
                                        ; implicit-def: $vgpr1_vgpr2
; %bb.11:
	s_or_saveexec_b64 s[4:5], s[4:5]
	s_load_dwordx2 s[2:3], s[2:3], 0x0
	s_xor_b64 exec, exec, s[4:5]
	s_cbranch_execz .LBB0_15
; %bb.12:
	s_add_u32 s6, s16, s6
	s_addc_u32 s7, s17, s7
	s_load_dwordx2 s[6:7], s[6:7], 0x0
	s_mov_b32 s14, 0x4ec4ec5
	v_mul_hi_u32 v5, v0, s14
	v_lshlrev_b64 v[1:2], 4, v[1:2]
	v_mov_b32_e32 v155, 0
	s_waitcnt lgkmcnt(0)
	v_mul_lo_u32 v6, s7, v156
	v_mul_lo_u32 v7, s6, v157
	v_mad_u64_u32 v[3:4], s[6:7], s6, v156, 0
	v_mul_u32_u24_e32 v5, 52, v5
	v_sub_u32_e32 v154, v0, v5
	v_add3_u32 v4, v4, v7, v6
	v_lshlrev_b64 v[3:4], 4, v[3:4]
	v_mov_b32_e32 v0, s9
	v_add_co_u32_e32 v3, vcc, s8, v3
	v_addc_co_u32_e32 v0, vcc, v0, v4, vcc
	v_add_co_u32_e32 v1, vcc, v3, v1
	v_addc_co_u32_e32 v0, vcc, v0, v2, vcc
	v_lshlrev_b32_e32 v100, 4, v154
	v_add_co_u32_e32 v82, vcc, v1, v100
	v_addc_co_u32_e32 v83, vcc, 0, v0, vcc
	s_movk_i32 s6, 0x1000
	v_add_co_u32_e32 v50, vcc, s6, v82
	v_or_b32_e32 v26, 0x3400, v100
	v_addc_co_u32_e32 v51, vcc, 0, v83, vcc
	v_add_co_u32_e32 v52, vcc, v1, v26
	s_movk_i32 s7, 0x3000
	v_addc_co_u32_e32 v53, vcc, 0, v0, vcc
	v_add_co_u32_e32 v84, vcc, s7, v82
	v_addc_co_u32_e32 v85, vcc, 0, v83, vcc
	s_movk_i32 s6, 0x2000
	v_add_co_u32_e32 v86, vcc, s6, v82
	v_addc_co_u32_e32 v87, vcc, 0, v83, vcc
	v_add_co_u32_e32 v98, vcc, 0x4000, v82
	v_addc_co_u32_e32 v99, vcc, 0, v83, vcc
	global_load_dwordx4 v[2:5], v[82:83], off
	global_load_dwordx4 v[6:9], v[82:83], off offset:832
	global_load_dwordx4 v[10:13], v[82:83], off offset:1664
	;; [unrolled: 1-line block ×5, first 2 shown]
	global_load_dwordx4 v[26:29], v[52:53], off
	global_load_dwordx4 v[30:33], v[84:85], off offset:3520
	global_load_dwordx4 v[34:37], v[50:51], off offset:896
	;; [unrolled: 1-line block ×5, first 2 shown]
	s_nop 0
	global_load_dwordx4 v[50:53], v[86:87], off offset:128
	global_load_dwordx4 v[54:57], v[86:87], off offset:960
	;; [unrolled: 1-line block ×8, first 2 shown]
	s_nop 0
	global_load_dwordx4 v[82:85], v[98:99], off offset:256
	global_load_dwordx4 v[86:89], v[98:99], off offset:1088
	;; [unrolled: 1-line block ×4, first 2 shown]
	v_add_u32_e32 v98, 0, v100
	v_cmp_eq_u32_e32 vcc, 51, v154
	s_waitcnt vmcnt(23)
	ds_write_b128 v98, v[2:5]
	s_waitcnt vmcnt(22)
	ds_write_b128 v98, v[6:9] offset:832
	s_waitcnt vmcnt(21)
	ds_write_b128 v98, v[10:13] offset:1664
	;; [unrolled: 2-line block ×5, first 2 shown]
	ds_write_b128 v98, v[22:25] offset:4160
	s_waitcnt vmcnt(15)
	ds_write_b128 v98, v[34:37] offset:4992
	s_waitcnt vmcnt(14)
	ds_write_b128 v98, v[38:41] offset:5824
	s_waitcnt vmcnt(13)
	ds_write_b128 v98, v[42:45] offset:6656
	s_waitcnt vmcnt(12)
	ds_write_b128 v98, v[46:49] offset:7488
	s_waitcnt vmcnt(11)
	ds_write_b128 v98, v[50:53] offset:8320
	s_waitcnt vmcnt(10)
	ds_write_b128 v98, v[54:57] offset:9152
	s_waitcnt vmcnt(9)
	ds_write_b128 v98, v[58:61] offset:9984
	s_waitcnt vmcnt(8)
	ds_write_b128 v98, v[62:65] offset:10816
	s_waitcnt vmcnt(7)
	ds_write_b128 v98, v[66:69] offset:11648
	s_waitcnt vmcnt(6)
	ds_write_b128 v98, v[70:73] offset:12480
	s_waitcnt vmcnt(5)
	ds_write_b128 v98, v[74:77] offset:14144
	s_waitcnt vmcnt(4)
	ds_write_b128 v98, v[78:81] offset:14976
	ds_write_b128 v98, v[30:33] offset:15808
	s_waitcnt vmcnt(3)
	ds_write_b128 v98, v[82:85] offset:16640
	s_waitcnt vmcnt(2)
	;; [unrolled: 2-line block ×4, first 2 shown]
	ds_write_b128 v98, v[94:97] offset:19136
	v_mov_b32_e32 v4, v154
	v_mov_b32_e32 v5, v155
	s_and_saveexec_b64 s[6:7], vcc
	s_cbranch_execz .LBB0_14
; %bb.13:
	v_add_co_u32_e32 v1, vcc, 0x4000, v1
	v_addc_co_u32_e32 v2, vcc, 0, v0, vcc
	global_load_dwordx4 v[0:3], v[1:2], off offset:3584
	v_mov_b32_e32 v4, 51
	v_mov_b32_e32 v5, 0
	;; [unrolled: 1-line block ×3, first 2 shown]
	s_waitcnt vmcnt(0)
	ds_write_b128 v155, v[0:3] offset:19968
.LBB0_14:
	s_or_b64 exec, exec, s[6:7]
.LBB0_15:
	s_or_b64 exec, exec, s[4:5]
	v_lshlrev_b32_e32 v0, 4, v154
	v_add_u32_e32 v196, 0, v0
	s_waitcnt lgkmcnt(0)
	; wave barrier
	s_waitcnt lgkmcnt(0)
	v_sub_u32_e32 v12, 0, v0
	ds_read_b64 v[6:7], v196
	ds_read_b64 v[8:9], v12 offset:19968
	s_add_u32 s6, s12, 0x4de0
	v_lshlrev_b64 v[161:162], 4, v[4:5]
	s_addc_u32 s7, s13, 0
	v_cmp_ne_u32_e32 vcc, 0, v154
	s_waitcnt lgkmcnt(0)
	v_add_f64 v[0:1], v[6:7], v[8:9]
	v_add_f64 v[2:3], v[6:7], -v[8:9]
	s_and_saveexec_b64 s[4:5], vcc
	s_xor_b64 s[4:5], exec, s[4:5]
	s_cbranch_execz .LBB0_17
; %bb.16:
	v_mov_b32_e32 v1, s7
	v_add_co_u32_e32 v0, vcc, s6, v161
	v_addc_co_u32_e32 v1, vcc, v1, v162, vcc
	global_load_dwordx4 v[2:5], v[0:1], off
	ds_read_b64 v[0:1], v12 offset:19976
	ds_read_b64 v[10:11], v196 offset:8
	v_add_f64 v[13:14], v[6:7], v[8:9]
	v_add_f64 v[8:9], v[6:7], -v[8:9]
	s_waitcnt lgkmcnt(0)
	v_add_f64 v[6:7], v[0:1], v[10:11]
	v_add_f64 v[0:1], v[10:11], -v[0:1]
	s_waitcnt vmcnt(0)
	v_fma_f64 v[10:11], v[8:9], v[4:5], v[13:14]
	v_fma_f64 v[13:14], -v[8:9], v[4:5], v[13:14]
	v_fma_f64 v[15:16], v[6:7], v[4:5], -v[0:1]
	v_fma_f64 v[17:18], v[6:7], v[4:5], v[0:1]
	v_fma_f64 v[0:1], -v[6:7], v[2:3], v[10:11]
	v_fma_f64 v[4:5], v[6:7], v[2:3], v[13:14]
	v_fma_f64 v[6:7], v[8:9], v[2:3], v[15:16]
	;; [unrolled: 1-line block ×3, first 2 shown]
	ds_write_b128 v12, v[4:7] offset:19968
.LBB0_17:
	s_andn2_saveexec_b64 s[4:5], s[4:5]
	s_cbranch_execz .LBB0_19
; %bb.18:
	v_mov_b32_e32 v8, 0
	ds_read_b128 v[4:7], v8 offset:9984
	s_waitcnt lgkmcnt(0)
	v_add_f64 v[4:5], v[4:5], v[4:5]
	v_mul_f64 v[6:7], v[6:7], -2.0
	ds_write_b128 v8, v[4:7] offset:9984
.LBB0_19:
	s_or_b64 exec, exec, s[4:5]
	v_mov_b32_e32 v155, 0
	v_lshlrev_b64 v[158:159], 4, v[154:155]
	v_mov_b32_e32 v5, s7
	v_add_co_u32_e32 v4, vcc, s6, v158
	v_addc_co_u32_e32 v5, vcc, v5, v159, vcc
	global_load_dwordx4 v[6:9], v[4:5], off offset:832
	global_load_dwordx4 v[13:16], v[4:5], off offset:1664
	ds_write_b128 v196, v[0:3]
	ds_read_b128 v[0:3], v196 offset:832
	ds_read_b128 v[17:20], v12 offset:19136
	global_load_dwordx4 v[21:24], v[4:5], off offset:2496
	s_movk_i32 s4, 0x1000
	v_add_u32_e32 v206, 52, v154
	v_lshl_add_u32 v98, v206, 5, 0
	s_waitcnt lgkmcnt(0)
	v_add_f64 v[10:11], v[0:1], v[17:18]
	v_add_f64 v[25:26], v[19:20], v[2:3]
	v_add_f64 v[17:18], v[0:1], -v[17:18]
	v_add_f64 v[0:1], v[2:3], -v[19:20]
	v_add_u32_e32 v202, 0x68, v154
	v_add_u32_e32 v200, 0x9c, v154
	;; [unrolled: 1-line block ×10, first 2 shown]
	v_lshl_add_u32 v99, v202, 5, 0
	v_lshl_add_u32 v100, v200, 5, 0
	;; [unrolled: 1-line block ×10, first 2 shown]
	v_lshlrev_b32_e32 v160, 1, v154
	s_movk_i32 s5, 0xfc
	s_movk_i32 s6, 0x1fc
	;; [unrolled: 1-line block ×6, first 2 shown]
	v_lshlrev_b32_e32 v163, 1, v206
	s_waitcnt vmcnt(2)
	v_fma_f64 v[2:3], v[17:18], v[8:9], v[10:11]
	v_fma_f64 v[19:20], v[25:26], v[8:9], v[0:1]
	v_fma_f64 v[10:11], -v[17:18], v[8:9], v[10:11]
	v_fma_f64 v[27:28], v[25:26], v[8:9], -v[0:1]
	v_fma_f64 v[0:1], -v[25:26], v[6:7], v[2:3]
	v_fma_f64 v[2:3], v[17:18], v[6:7], v[19:20]
	v_fma_f64 v[8:9], v[25:26], v[6:7], v[10:11]
	;; [unrolled: 1-line block ×3, first 2 shown]
	ds_write_b128 v196, v[0:3] offset:832
	ds_write_b128 v12, v[8:11] offset:19136
	ds_read_b128 v[0:3], v196 offset:1664
	ds_read_b128 v[6:9], v12 offset:18304
	global_load_dwordx4 v[17:20], v[4:5], off offset:3328
	s_waitcnt lgkmcnt(0)
	v_add_f64 v[10:11], v[0:1], v[6:7]
	v_add_f64 v[25:26], v[8:9], v[2:3]
	v_add_f64 v[27:28], v[0:1], -v[6:7]
	v_add_f64 v[0:1], v[2:3], -v[8:9]
	s_waitcnt vmcnt(2)
	v_fma_f64 v[2:3], v[27:28], v[15:16], v[10:11]
	v_fma_f64 v[6:7], v[25:26], v[15:16], v[0:1]
	v_fma_f64 v[8:9], -v[27:28], v[15:16], v[10:11]
	v_fma_f64 v[10:11], v[25:26], v[15:16], -v[0:1]
	v_fma_f64 v[0:1], -v[25:26], v[13:14], v[2:3]
	v_fma_f64 v[2:3], v[27:28], v[13:14], v[6:7]
	v_fma_f64 v[6:7], v[25:26], v[13:14], v[8:9]
	;; [unrolled: 1-line block ×3, first 2 shown]
	v_add_co_u32_e32 v10, vcc, s4, v4
	ds_write_b128 v196, v[0:3] offset:1664
	ds_write_b128 v12, v[6:9] offset:18304
	v_addc_co_u32_e32 v11, vcc, 0, v5, vcc
	ds_read_b128 v[0:3], v196 offset:2496
	ds_read_b128 v[6:9], v12 offset:17472
	global_load_dwordx4 v[13:16], v[10:11], off offset:64
	s_movk_i32 s4, 0x2000
	s_waitcnt lgkmcnt(0)
	v_add_f64 v[25:26], v[0:1], v[6:7]
	v_add_f64 v[27:28], v[8:9], v[2:3]
	v_add_f64 v[29:30], v[0:1], -v[6:7]
	v_add_f64 v[0:1], v[2:3], -v[8:9]
	s_waitcnt vmcnt(2)
	v_fma_f64 v[2:3], v[29:30], v[23:24], v[25:26]
	v_fma_f64 v[6:7], v[27:28], v[23:24], v[0:1]
	v_fma_f64 v[8:9], -v[29:30], v[23:24], v[25:26]
	v_fma_f64 v[23:24], v[27:28], v[23:24], -v[0:1]
	v_fma_f64 v[0:1], -v[27:28], v[21:22], v[2:3]
	v_fma_f64 v[2:3], v[29:30], v[21:22], v[6:7]
	v_fma_f64 v[6:7], v[27:28], v[21:22], v[8:9]
	v_fma_f64 v[8:9], v[29:30], v[21:22], v[23:24]
	ds_write_b128 v196, v[0:3] offset:2496
	ds_write_b128 v12, v[6:9] offset:17472
	ds_read_b128 v[0:3], v196 offset:3328
	ds_read_b128 v[6:9], v12 offset:16640
	global_load_dwordx4 v[21:24], v[10:11], off offset:896
	s_waitcnt lgkmcnt(0)
	v_add_f64 v[25:26], v[0:1], v[6:7]
	v_add_f64 v[27:28], v[8:9], v[2:3]
	v_add_f64 v[29:30], v[0:1], -v[6:7]
	v_add_f64 v[0:1], v[2:3], -v[8:9]
	s_waitcnt vmcnt(2)
	v_fma_f64 v[2:3], v[29:30], v[19:20], v[25:26]
	v_fma_f64 v[6:7], v[27:28], v[19:20], v[0:1]
	v_fma_f64 v[8:9], -v[29:30], v[19:20], v[25:26]
	v_fma_f64 v[19:20], v[27:28], v[19:20], -v[0:1]
	v_fma_f64 v[0:1], -v[27:28], v[17:18], v[2:3]
	v_fma_f64 v[2:3], v[29:30], v[17:18], v[6:7]
	v_fma_f64 v[6:7], v[27:28], v[17:18], v[8:9]
	v_fma_f64 v[8:9], v[29:30], v[17:18], v[19:20]
	ds_write_b128 v196, v[0:3] offset:3328
	ds_write_b128 v12, v[6:9] offset:16640
	ds_read_b128 v[0:3], v196 offset:4160
	ds_read_b128 v[6:9], v12 offset:15808
	global_load_dwordx4 v[17:20], v[10:11], off offset:1728
	;; [unrolled: 19-line block ×4, first 2 shown]
	s_waitcnt lgkmcnt(0)
	v_add_f64 v[10:11], v[0:1], v[6:7]
	v_add_f64 v[25:26], v[8:9], v[2:3]
	v_add_f64 v[27:28], v[0:1], -v[6:7]
	v_add_f64 v[0:1], v[2:3], -v[8:9]
	s_waitcnt vmcnt(2)
	v_fma_f64 v[2:3], v[27:28], v[19:20], v[10:11]
	v_fma_f64 v[6:7], v[25:26], v[19:20], v[0:1]
	v_fma_f64 v[8:9], -v[27:28], v[19:20], v[10:11]
	v_fma_f64 v[10:11], v[25:26], v[19:20], -v[0:1]
	v_fma_f64 v[0:1], -v[25:26], v[17:18], v[2:3]
	v_fma_f64 v[2:3], v[27:28], v[17:18], v[6:7]
	v_fma_f64 v[6:7], v[25:26], v[17:18], v[8:9]
	;; [unrolled: 1-line block ×3, first 2 shown]
	v_add_co_u32_e32 v25, vcc, s4, v4
	ds_write_b128 v196, v[0:3] offset:5824
	ds_write_b128 v12, v[6:9] offset:14144
	v_addc_co_u32_e32 v26, vcc, 0, v5, vcc
	ds_read_b128 v[0:3], v196 offset:6656
	ds_read_b128 v[6:9], v12 offset:13312
	global_load_dwordx4 v[17:20], v[25:26], off offset:128
	s_movk_i32 s4, 0x7c
	v_cmp_gt_u32_e32 vcc, 44, v154
	s_waitcnt lgkmcnt(0)
	v_add_f64 v[4:5], v[0:1], v[6:7]
	v_add_f64 v[10:11], v[8:9], v[2:3]
	v_add_f64 v[6:7], v[0:1], -v[6:7]
	v_add_f64 v[0:1], v[2:3], -v[8:9]
	s_waitcnt vmcnt(2)
	v_fma_f64 v[2:3], v[6:7], v[15:16], v[4:5]
	v_fma_f64 v[8:9], v[10:11], v[15:16], v[0:1]
	v_fma_f64 v[4:5], -v[6:7], v[15:16], v[4:5]
	v_fma_f64 v[15:16], v[10:11], v[15:16], -v[0:1]
	v_fma_f64 v[0:1], -v[10:11], v[13:14], v[2:3]
	v_fma_f64 v[2:3], v[6:7], v[13:14], v[8:9]
	v_fma_f64 v[4:5], v[10:11], v[13:14], v[4:5]
	;; [unrolled: 1-line block ×3, first 2 shown]
	ds_write_b128 v196, v[0:3] offset:6656
	ds_write_b128 v12, v[4:7] offset:13312
	ds_read_b128 v[4:7], v196 offset:7488
	ds_read_b128 v[8:11], v12 offset:12480
	global_load_dwordx4 v[0:3], v[25:26], off offset:960
	s_waitcnt lgkmcnt(0)
	v_add_f64 v[13:14], v[4:5], v[8:9]
	v_add_f64 v[15:16], v[10:11], v[6:7]
	v_add_f64 v[25:26], v[4:5], -v[8:9]
	v_add_f64 v[4:5], v[6:7], -v[10:11]
	s_waitcnt vmcnt(2)
	v_fma_f64 v[6:7], v[25:26], v[23:24], v[13:14]
	v_fma_f64 v[8:9], v[15:16], v[23:24], v[4:5]
	v_fma_f64 v[10:11], -v[25:26], v[23:24], v[13:14]
	v_fma_f64 v[13:14], v[15:16], v[23:24], -v[4:5]
	v_fma_f64 v[4:5], -v[15:16], v[21:22], v[6:7]
	v_fma_f64 v[6:7], v[25:26], v[21:22], v[8:9]
	v_fma_f64 v[8:9], v[15:16], v[21:22], v[10:11]
	;; [unrolled: 1-line block ×3, first 2 shown]
	ds_write_b128 v196, v[4:7] offset:7488
	ds_write_b128 v12, v[8:11] offset:12480
	ds_read_b128 v[4:7], v196 offset:8320
	ds_read_b128 v[8:11], v12 offset:11648
	s_waitcnt lgkmcnt(0)
	v_add_f64 v[13:14], v[4:5], v[8:9]
	v_add_f64 v[15:16], v[10:11], v[6:7]
	v_add_f64 v[21:22], v[4:5], -v[8:9]
	v_add_f64 v[4:5], v[6:7], -v[10:11]
	s_waitcnt vmcnt(1)
	v_fma_f64 v[6:7], v[21:22], v[19:20], v[13:14]
	v_fma_f64 v[8:9], v[15:16], v[19:20], v[4:5]
	v_fma_f64 v[10:11], -v[21:22], v[19:20], v[13:14]
	v_fma_f64 v[13:14], v[15:16], v[19:20], -v[4:5]
	v_fma_f64 v[4:5], -v[15:16], v[17:18], v[6:7]
	v_fma_f64 v[6:7], v[21:22], v[17:18], v[8:9]
	v_fma_f64 v[8:9], v[15:16], v[17:18], v[10:11]
	;; [unrolled: 1-line block ×3, first 2 shown]
	ds_write_b128 v196, v[4:7] offset:8320
	ds_write_b128 v12, v[8:11] offset:11648
	ds_read_b128 v[4:7], v196 offset:9152
	ds_read_b128 v[8:11], v12 offset:10816
	v_lshl_add_u32 v13, v154, 5, 0
	s_waitcnt lgkmcnt(0)
	v_add_f64 v[14:15], v[4:5], v[8:9]
	v_add_f64 v[16:17], v[10:11], v[6:7]
	v_add_f64 v[18:19], v[4:5], -v[8:9]
	v_add_f64 v[5:6], v[6:7], -v[10:11]
	v_and_b32_e32 v4, 1, v154
	v_lshlrev_b32_e32 v109, 4, v4
	s_waitcnt vmcnt(0)
	v_fma_f64 v[7:8], v[18:19], v[2:3], v[14:15]
	v_fma_f64 v[9:10], v[16:17], v[2:3], v[5:6]
	v_fma_f64 v[14:15], -v[18:19], v[2:3], v[14:15]
	v_fma_f64 v[2:3], v[16:17], v[2:3], -v[5:6]
	v_fma_f64 v[5:6], -v[16:17], v[0:1], v[7:8]
	v_fma_f64 v[7:8], v[18:19], v[0:1], v[9:10]
	v_fma_f64 v[14:15], v[16:17], v[0:1], v[14:15]
	;; [unrolled: 1-line block ×3, first 2 shown]
	ds_write_b128 v196, v[5:8] offset:9152
	ds_write_b128 v12, v[14:17] offset:10816
	s_waitcnt lgkmcnt(0)
	; wave barrier
	s_waitcnt lgkmcnt(0)
	s_waitcnt lgkmcnt(0)
	; wave barrier
	s_waitcnt lgkmcnt(0)
	ds_read_b128 v[0:3], v196
	ds_read_b128 v[5:8], v196 offset:832
	ds_read_b128 v[9:12], v196 offset:9984
	;; [unrolled: 1-line block ×23, first 2 shown]
	s_waitcnt lgkmcnt(14)
	v_add_f64 v[9:10], v[0:1], -v[9:10]
	v_add_f64 v[11:12], v[2:3], -v[11:12]
	;; [unrolled: 1-line block ×8, first 2 shown]
	s_waitcnt lgkmcnt(13)
	v_add_f64 v[42:43], v[34:35], -v[42:43]
	v_add_f64 v[44:45], v[36:37], -v[44:45]
	s_waitcnt lgkmcnt(12)
	v_add_f64 v[46:47], v[38:39], -v[46:47]
	v_add_f64 v[48:49], v[40:41], -v[48:49]
	;; [unrolled: 3-line block ×8, first 2 shown]
	v_fma_f64 v[0:1], v[0:1], 2.0, -v[9:10]
	v_fma_f64 v[2:3], v[2:3], 2.0, -v[11:12]
	v_fma_f64 v[5:6], v[5:6], 2.0, -v[14:15]
	v_fma_f64 v[7:8], v[7:8], 2.0, -v[16:17]
	s_waitcnt lgkmcnt(0)
	; wave barrier
	ds_write_b128 v13, v[9:12] offset:16
	v_fma_f64 v[9:10], v[18:19], 2.0, -v[26:27]
	v_fma_f64 v[11:12], v[20:21], 2.0, -v[28:29]
	ds_write_b128 v98, v[14:17] offset:16
	v_fma_f64 v[14:15], v[22:23], 2.0, -v[30:31]
	v_fma_f64 v[16:17], v[24:25], 2.0, -v[32:33]
	;; [unrolled: 1-line block ×6, first 2 shown]
	ds_write_b128 v99, v[26:29] offset:16
	v_fma_f64 v[26:27], v[50:51], 2.0, -v[58:59]
	v_fma_f64 v[28:29], v[52:53], 2.0, -v[60:61]
	ds_write_b128 v100, v[30:33] offset:16
	ds_write_b128 v101, v[42:45] offset:16
	;; [unrolled: 1-line block ×4, first 2 shown]
	v_fma_f64 v[30:31], v[54:55], 2.0, -v[62:63]
	v_fma_f64 v[32:33], v[56:57], 2.0, -v[64:65]
	ds_write_b128 v104, v[62:65] offset:16
	v_fma_f64 v[34:35], v[66:67], 2.0, -v[74:75]
	v_fma_f64 v[36:37], v[68:69], 2.0, -v[76:77]
	ds_write_b128 v105, v[74:77] offset:16
	;; [unrolled: 3-line block ×5, first 2 shown]
	ds_write_b128 v13, v[0:3]
	ds_write_b128 v98, v[5:8]
	;; [unrolled: 1-line block ×12, first 2 shown]
	s_waitcnt lgkmcnt(0)
	; wave barrier
	s_waitcnt lgkmcnt(0)
	global_load_dwordx4 v[0:3], v109, s[12:13]
	v_and_or_b32 v5, v160, s4, v4
	v_lshlrev_b32_e32 v6, 1, v202
	v_lshlrev_b32_e32 v7, 1, v200
	;; [unrolled: 1-line block ×10, first 2 shown]
	v_lshl_add_u32 v146, v5, 4, 0
	v_and_or_b32 v5, v163, s5, v4
	v_and_or_b32 v6, v6, s6, v4
	;; [unrolled: 1-line block ×11, first 2 shown]
	v_lshl_add_u32 v147, v5, 4, 0
	v_lshl_add_u32 v148, v6, 4, 0
	;; [unrolled: 1-line block ×11, first 2 shown]
	ds_read_b128 v[4:7], v196 offset:9984
	ds_read_b128 v[8:11], v196 offset:10816
	ds_read_b128 v[12:15], v196 offset:11648
	ds_read_b128 v[16:19], v196 offset:12480
	ds_read_b128 v[20:23], v196 offset:13312
	ds_read_b128 v[24:27], v196 offset:14144
	ds_read_b128 v[28:31], v196 offset:14976
	ds_read_b128 v[32:35], v196 offset:15808
	ds_read_b128 v[36:39], v196 offset:16640
	ds_read_b128 v[40:43], v196 offset:17472
	ds_read_b128 v[44:47], v196 offset:18304
	ds_read_b128 v[48:51], v196 offset:19136
	ds_read_b128 v[52:55], v196
	ds_read_b128 v[56:59], v196 offset:832
	ds_read_b128 v[60:63], v196 offset:1664
	;; [unrolled: 1-line block ×11, first 2 shown]
	s_waitcnt lgkmcnt(0)
	; wave barrier
	s_waitcnt vmcnt(0) lgkmcnt(0)
	v_mul_f64 v[100:101], v[6:7], v[2:3]
	v_mul_f64 v[102:103], v[4:5], v[2:3]
	;; [unrolled: 1-line block ×24, first 2 shown]
	v_fma_f64 v[4:5], v[4:5], v[0:1], v[100:101]
	v_fma_f64 v[6:7], v[6:7], v[0:1], -v[102:103]
	v_fma_f64 v[100:101], v[8:9], v[0:1], v[104:105]
	v_fma_f64 v[102:103], v[10:11], v[0:1], -v[106:107]
	;; [unrolled: 2-line block ×12, first 2 shown]
	v_add_f64 v[8:9], v[52:53], -v[4:5]
	v_add_f64 v[10:11], v[54:55], -v[6:7]
	v_add_f64 v[44:45], v[56:57], -v[100:101]
	v_add_f64 v[46:47], v[58:59], -v[102:103]
	v_add_f64 v[48:49], v[60:61], -v[12:13]
	v_add_f64 v[50:51], v[62:63], -v[14:15]
	v_add_f64 v[100:101], v[64:65], -v[16:17]
	v_add_f64 v[102:103], v[66:67], -v[18:19]
	v_add_f64 v[104:105], v[68:69], -v[20:21]
	v_add_f64 v[106:107], v[70:71], -v[22:23]
	v_add_f64 v[108:109], v[72:73], -v[24:25]
	v_add_f64 v[110:111], v[74:75], -v[26:27]
	v_add_f64 v[0:1], v[76:77], -v[28:29]
	v_add_f64 v[2:3], v[78:79], -v[30:31]
	v_add_f64 v[4:5], v[80:81], -v[32:33]
	v_add_f64 v[6:7], v[82:83], -v[34:35]
	v_add_f64 v[16:17], v[84:85], -v[36:37]
	v_add_f64 v[18:19], v[86:87], -v[38:39]
	v_add_f64 v[28:29], v[88:89], -v[40:41]
	v_add_f64 v[30:31], v[90:91], -v[42:43]
	v_add_f64 v[36:37], v[92:93], -v[112:113]
	v_add_f64 v[38:39], v[94:95], -v[114:115]
	v_add_f64 v[20:21], v[96:97], -v[116:117]
	v_add_f64 v[22:23], v[98:99], -v[118:119]
	v_fma_f64 v[52:53], v[52:53], 2.0, -v[8:9]
	v_fma_f64 v[54:55], v[54:55], 2.0, -v[10:11]
	;; [unrolled: 1-line block ×10, first 2 shown]
	ds_write_b128 v146, v[8:11] offset:32
	v_fma_f64 v[72:73], v[72:73], 2.0, -v[108:109]
	v_fma_f64 v[74:75], v[74:75], 2.0, -v[110:111]
	;; [unrolled: 1-line block ×14, first 2 shown]
	ds_write_b128 v146, v[52:55]
	ds_write_b128 v147, v[56:59]
	ds_write_b128 v147, v[44:47] offset:32
	ds_write_b128 v148, v[60:63]
	ds_write_b128 v148, v[48:51] offset:32
	;; [unrolled: 2-line block ×11, first 2 shown]
	s_waitcnt lgkmcnt(0)
	; wave barrier
	s_waitcnt lgkmcnt(0)
	ds_read_b128 v[100:103], v196
	ds_read_b128 v[148:151], v196 offset:1536
	ds_read_b128 v[144:147], v196 offset:3072
	ds_read_b128 v[140:143], v196 offset:4608
	ds_read_b128 v[132:135], v196 offset:6144
	ds_read_b128 v[128:131], v196 offset:7680
	ds_read_b128 v[124:127], v196 offset:9216
	ds_read_b128 v[120:123], v196 offset:10752
	ds_read_b128 v[116:119], v196 offset:12288
	ds_read_b128 v[112:115], v196 offset:13824
	ds_read_b128 v[108:111], v196 offset:15360
	ds_read_b128 v[104:107], v196 offset:16896
	ds_read_b128 v[136:139], v196 offset:18432
                                        ; implicit-def: $vgpr50_vgpr51
                                        ; implicit-def: $vgpr46_vgpr47
	s_and_saveexec_b64 s[4:5], vcc
	s_cbranch_execz .LBB0_21
; %bb.20:
	ds_read_b128 v[0:3], v196 offset:832
	ds_read_b128 v[8:11], v196 offset:2368
	;; [unrolled: 1-line block ×13, first 2 shown]
.LBB0_21:
	s_or_b64 exec, exec, s[4:5]
	v_and_b32_e32 v207, 3, v154
	v_mul_u32_u24_e32 v52, 12, v207
	v_lshlrev_b32_e32 v80, 4, v52
	global_load_dwordx4 v[60:63], v80, s[12:13] offset:32
	global_load_dwordx4 v[56:59], v80, s[12:13] offset:48
	;; [unrolled: 1-line block ×11, first 2 shown]
	s_nop 0
	global_load_dwordx4 v[80:83], v80, s[12:13] offset:192
	s_mov_b32 s6, 0x4267c47c
	s_mov_b32 s4, 0xe00740e9
	;; [unrolled: 1-line block ×36, first 2 shown]
	s_waitcnt lgkmcnt(0)
	; wave barrier
	s_waitcnt vmcnt(11) lgkmcnt(0)
	v_mul_f64 v[164:165], v[150:151], v[62:63]
	v_mul_f64 v[166:167], v[148:149], v[62:63]
	s_waitcnt vmcnt(10)
	v_mul_f64 v[168:169], v[146:147], v[58:59]
	v_mul_f64 v[170:171], v[144:145], v[58:59]
	s_waitcnt vmcnt(7)
	;; [unrolled: 3-line block ×3, first 2 shown]
	v_mul_f64 v[190:191], v[122:123], v[86:87]
	s_waitcnt vmcnt(4)
	v_mul_f64 v[188:189], v[136:137], v[78:79]
	v_mul_f64 v[208:209], v[138:139], v[78:79]
	v_mul_f64 v[176:177], v[134:135], v[66:67]
	v_mul_f64 v[178:179], v[132:133], v[66:67]
	s_waitcnt vmcnt(2)
	v_mul_f64 v[212:213], v[114:115], v[70:71]
	v_mul_f64 v[214:215], v[112:113], v[70:71]
	s_waitcnt vmcnt(1)
	v_mul_f64 v[216:217], v[110:111], v[74:75]
	v_mul_f64 v[218:219], v[108:109], v[74:75]
	;; [unrolled: 3-line block ×3, first 2 shown]
	v_fma_f64 v[148:149], v[148:149], v[60:61], v[164:165]
	v_fma_f64 v[150:151], v[150:151], v[60:61], -v[166:167]
	v_fma_f64 v[224:225], v[130:131], v[92:93], -v[182:183]
	;; [unrolled: 1-line block ×3, first 2 shown]
	v_fma_f64 v[182:183], v[120:121], v[84:85], v[190:191]
	v_fma_f64 v[190:191], v[136:137], v[76:77], v[208:209]
	v_mul_f64 v[174:175], v[140:141], v[54:55]
	v_mul_f64 v[180:181], v[130:131], v[94:95]
	;; [unrolled: 1-line block ×7, first 2 shown]
	v_fma_f64 v[144:145], v[144:145], v[56:57], v[168:169]
	v_fma_f64 v[146:147], v[146:147], v[56:57], -v[170:171]
	v_fma_f64 v[168:169], v[140:141], v[52:53], v[172:173]
	v_fma_f64 v[172:173], v[132:133], v[64:65], v[176:177]
	v_fma_f64 v[132:133], v[134:135], v[64:65], -v[178:179]
	v_fma_f64 v[134:135], v[112:113], v[68:69], v[212:213]
	v_fma_f64 v[136:137], v[114:115], v[68:69], -v[214:215]
	v_add_f64 v[112:113], v[150:151], -v[188:189]
	v_fma_f64 v[212:213], v[108:109], v[72:73], v[216:217]
	v_fma_f64 v[214:215], v[110:111], v[72:73], -v[218:219]
	v_fma_f64 v[216:217], v[104:105], v[80:81], v[220:221]
	v_fma_f64 v[218:219], v[106:107], v[80:81], -v[222:223]
	v_add_f64 v[104:105], v[148:149], v[190:191]
	v_add_f64 v[106:107], v[150:151], v[188:189]
	v_add_f64 v[108:109], v[148:149], -v[190:191]
	v_add_f64 v[148:149], v[100:101], v[148:149]
	v_add_f64 v[150:151], v[102:103], v[150:151]
	v_fma_f64 v[170:171], v[142:143], v[52:53], -v[174:175]
	v_fma_f64 v[174:175], v[128:129], v[92:93], v[180:181]
	v_fma_f64 v[180:181], v[124:125], v[88:89], v[184:185]
	v_fma_f64 v[184:185], v[126:127], v[88:89], -v[186:187]
	v_fma_f64 v[186:187], v[122:123], v[84:85], -v[192:193]
	v_fma_f64 v[208:209], v[116:117], v[96:97], v[194:195]
	v_fma_f64 v[210:211], v[118:119], v[96:97], -v[210:211]
	v_mul_f64 v[110:111], v[112:113], s[6:7]
	v_mul_f64 v[114:115], v[112:113], s[14:15]
	;; [unrolled: 1-line block ×7, first 2 shown]
	v_add_f64 v[148:149], v[148:149], v[144:145]
	v_add_f64 v[150:151], v[150:151], v[146:147]
	v_mul_f64 v[124:125], v[106:107], s[8:9]
	v_mul_f64 v[126:127], v[106:107], s[16:17]
	v_fma_f64 v[128:129], v[104:105], s[4:5], v[110:111]
	v_fma_f64 v[110:111], v[104:105], s[4:5], -v[110:111]
	v_fma_f64 v[130:131], v[104:105], s[8:9], v[114:115]
	v_fma_f64 v[114:115], v[104:105], s[8:9], -v[114:115]
	;; [unrolled: 2-line block ×6, first 2 shown]
	v_fma_f64 v[104:105], v[108:109], s[34:35], v[122:123]
	v_mul_f64 v[164:165], v[106:107], s[20:21]
	v_mul_f64 v[166:167], v[106:107], s[22:23]
	;; [unrolled: 1-line block ×3, first 2 shown]
	v_add_f64 v[148:149], v[148:149], v[168:169]
	v_add_f64 v[150:151], v[150:151], v[170:171]
	v_fma_f64 v[112:113], v[108:109], s[6:7], v[122:123]
	v_fma_f64 v[122:123], v[108:109], s[40:41], v[124:125]
	v_add_f64 v[242:243], v[102:103], v[104:105]
	v_fma_f64 v[124:125], v[108:109], s[14:15], v[124:125]
	v_fma_f64 v[142:143], v[108:109], s[36:37], v[126:127]
	;; [unrolled: 1-line block ×4, first 2 shown]
	v_add_f64 v[104:105], v[148:149], v[172:173]
	v_add_f64 v[106:107], v[150:151], v[132:133]
	v_fma_f64 v[126:127], v[108:109], s[18:19], v[126:127]
	v_fma_f64 v[228:229], v[108:109], s[42:43], v[164:165]
	v_add_f64 v[246:247], v[102:103], v[112:113]
	v_add_f64 v[250:251], v[102:103], v[122:123]
	;; [unrolled: 1-line block ×6, first 2 shown]
	v_add_f64 v[114:115], v[146:147], -v[218:219]
	v_add_f64 v[112:113], v[146:147], v[218:219]
	v_fma_f64 v[230:231], v[108:109], s[24:25], v[164:165]
	v_fma_f64 v[232:233], v[108:109], s[38:39], v[166:167]
	;; [unrolled: 1-line block ×3, first 2 shown]
	v_add_f64 v[194:195], v[102:103], v[124:125]
	v_add_f64 v[104:105], v[104:105], v[180:181]
	;; [unrolled: 1-line block ×8, first 2 shown]
	v_mul_f64 v[220:221], v[114:115], s[14:15]
	v_add_f64 v[122:123], v[104:105], v[182:183]
	v_add_f64 v[138:139], v[106:107], v[186:187]
	;; [unrolled: 1-line block ×3, first 2 shown]
	v_add_f64 v[106:107], v[144:145], -v[216:217]
	v_mul_f64 v[228:229], v[112:113], s[8:9]
	v_add_f64 v[126:127], v[170:171], -v[214:215]
	v_add_f64 v[124:125], v[170:171], v[214:215]
	v_add_f64 v[240:241], v[100:101], v[128:129]
	;; [unrolled: 1-line block ×9, first 2 shown]
	v_fma_f64 v[146:147], v[104:105], s[8:9], v[220:221]
	v_fma_f64 v[148:149], v[106:107], s[40:41], v[228:229]
	v_add_f64 v[120:121], v[168:169], v[212:213]
	v_add_f64 v[122:123], v[168:169], -v[212:213]
	v_mul_f64 v[230:231], v[126:127], s[18:19]
	v_mul_f64 v[232:233], v[124:125], s[16:17]
	v_add_f64 v[144:145], v[144:145], v[134:135]
	v_add_f64 v[150:151], v[138:139], v[136:137]
	v_add_f64 v[138:139], v[132:133], -v[136:137]
	v_add_f64 v[136:137], v[132:133], v[136:137]
	v_add_f64 v[244:245], v[100:101], v[110:111]
	;; [unrolled: 1-line block ×5, first 2 shown]
	v_fma_f64 v[170:171], v[120:121], s[16:17], v[230:231]
	v_fma_f64 v[234:235], v[122:123], s[36:37], v[232:233]
	v_add_f64 v[132:133], v[172:173], v[134:135]
	v_add_f64 v[134:135], v[172:173], -v[134:135]
	v_mul_f64 v[240:241], v[138:139], s[24:25]
	v_mul_f64 v[242:243], v[136:137], s[20:21]
	v_add_f64 v[172:173], v[144:145], v[212:213]
	v_add_f64 v[212:213], v[150:151], v[214:215]
	v_add_f64 v[150:151], v[224:225], -v[210:211]
	v_add_f64 v[148:149], v[224:225], v[210:211]
	v_add_f64 v[210:211], v[170:171], v[146:147]
	;; [unrolled: 1-line block ×3, first 2 shown]
	v_fma_f64 v[224:225], v[132:133], s[20:21], v[240:241]
	v_fma_f64 v[234:235], v[134:135], s[42:43], v[242:243]
	v_add_f64 v[144:145], v[174:175], v[208:209]
	v_add_f64 v[146:147], v[174:175], -v[208:209]
	v_mul_f64 v[208:209], v[150:151], s[28:29]
	v_mul_f64 v[252:253], v[148:149], s[22:23]
	v_add_f64 v[168:169], v[100:101], v[222:223]
	v_add_f64 v[216:217], v[172:173], v[216:217]
	v_add_f64 v[212:213], v[212:213], v[218:219]
	v_add_f64 v[210:211], v[224:225], v[210:211]
	v_add_f64 v[214:215], v[234:235], v[214:215]
	v_fma_f64 v[220:221], v[104:105], s[8:9], -v[220:221]
	v_fma_f64 v[218:219], v[144:145], s[22:23], v[208:209]
	v_fma_f64 v[222:223], v[146:147], s[38:39], v[252:253]
	v_fma_f64 v[224:225], v[106:107], s[14:15], v[228:229]
	v_add_f64 v[140:141], v[100:101], v[140:141]
	v_add_f64 v[170:171], v[102:103], v[236:237]
	v_add_f64 v[172:173], v[100:101], v[226:227]
	v_add_f64 v[174:175], v[102:103], v[238:239]
	v_add_f64 v[100:101], v[216:217], v[190:191]
	v_add_f64 v[102:103], v[212:213], v[188:189]
	v_add_f64 v[188:189], v[218:219], v[210:211]
	v_add_f64 v[190:191], v[222:223], v[214:215]
	v_add_f64 v[212:213], v[184:185], -v[186:187]
	v_add_f64 v[214:215], v[184:185], v[186:187]
	v_add_f64 v[186:187], v[220:221], v[244:245]
	;; [unrolled: 1-line block ×3, first 2 shown]
	v_fma_f64 v[216:217], v[120:121], s[16:17], -v[230:231]
	v_fma_f64 v[218:219], v[122:123], s[18:19], v[232:233]
	v_mul_f64 v[222:223], v[114:115], s[24:25]
	v_mul_f64 v[224:225], v[112:113], s[20:21]
	v_add_f64 v[184:185], v[180:181], v[182:183]
	v_add_f64 v[180:181], v[180:181], -v[182:183]
	v_mul_f64 v[182:183], v[212:213], s[30:31]
	v_mul_f64 v[220:221], v[214:215], s[26:27]
	v_add_f64 v[186:187], v[216:217], v[186:187]
	v_add_f64 v[210:211], v[218:219], v[210:211]
	v_fma_f64 v[216:217], v[132:133], s[20:21], -v[240:241]
	v_fma_f64 v[218:219], v[134:135], s[24:25], v[242:243]
	v_fma_f64 v[230:231], v[104:105], s[20:21], v[222:223]
	;; [unrolled: 1-line block ×3, first 2 shown]
	v_mul_f64 v[234:235], v[126:127], s[30:31]
	v_mul_f64 v[236:237], v[124:125], s[26:27]
	v_fma_f64 v[226:227], v[184:185], s[26:27], v[182:183]
	v_fma_f64 v[228:229], v[180:181], s[44:45], v[220:221]
	v_add_f64 v[216:217], v[216:217], v[186:187]
	v_add_f64 v[210:211], v[218:219], v[210:211]
	v_fma_f64 v[208:209], v[144:145], s[22:23], -v[208:209]
	v_fma_f64 v[218:219], v[146:147], s[28:29], v[252:253]
	v_add_f64 v[230:231], v[230:231], v[248:249]
	v_add_f64 v[232:233], v[232:233], v[250:251]
	v_fma_f64 v[238:239], v[120:121], s[26:27], v[234:235]
	v_fma_f64 v[240:241], v[122:123], s[44:45], v[236:237]
	v_mul_f64 v[242:243], v[138:139], s[38:39]
	v_mul_f64 v[244:245], v[136:137], s[22:23]
	v_add_f64 v[186:187], v[226:227], v[188:189]
	v_add_f64 v[188:189], v[228:229], v[190:191]
	;; [unrolled: 1-line block ×6, first 2 shown]
	v_fma_f64 v[218:219], v[132:133], s[22:23], v[242:243]
	v_fma_f64 v[226:227], v[134:135], s[28:29], v[244:245]
	v_mul_f64 v[228:229], v[150:151], s[36:37]
	v_fma_f64 v[182:183], v[184:185], s[26:27], -v[182:183]
	v_fma_f64 v[222:223], v[104:105], s[20:21], -v[222:223]
	v_fma_f64 v[224:225], v[106:107], s[24:25], v[224:225]
	v_mul_f64 v[230:231], v[148:149], s[16:17]
	v_fma_f64 v[220:221], v[180:181], s[30:31], v[220:221]
	v_add_f64 v[218:219], v[218:219], v[208:209]
	v_add_f64 v[216:217], v[226:227], v[216:217]
	v_fma_f64 v[226:227], v[144:145], s[16:17], v[228:229]
	v_add_f64 v[208:209], v[182:183], v[190:191]
	v_add_f64 v[182:183], v[222:223], v[192:193]
	;; [unrolled: 1-line block ×3, first 2 shown]
	v_fma_f64 v[192:193], v[120:121], s[26:27], -v[234:235]
	v_fma_f64 v[194:195], v[122:123], s[30:31], v[236:237]
	v_mul_f64 v[224:225], v[114:115], s[30:31]
	v_fma_f64 v[232:233], v[146:147], s[18:19], v[230:231]
	v_add_f64 v[218:219], v[226:227], v[218:219]
	v_mul_f64 v[226:227], v[112:113], s[26:27]
	v_add_f64 v[210:211], v[220:221], v[210:211]
	v_mul_f64 v[220:221], v[212:213], s[34:35]
	v_mul_f64 v[222:223], v[214:215], s[4:5]
	v_add_f64 v[182:183], v[192:193], v[182:183]
	v_add_f64 v[190:191], v[194:195], v[190:191]
	v_fma_f64 v[192:193], v[132:133], s[22:23], -v[242:243]
	v_fma_f64 v[194:195], v[134:135], s[38:39], v[244:245]
	v_fma_f64 v[236:237], v[104:105], s[26:27], v[224:225]
	;; [unrolled: 1-line block ×3, first 2 shown]
	v_mul_f64 v[240:241], v[126:127], s[42:43]
	v_mul_f64 v[242:243], v[124:125], s[20:21]
	v_add_f64 v[216:217], v[232:233], v[216:217]
	v_fma_f64 v[232:233], v[184:185], s[4:5], v[220:221]
	v_fma_f64 v[234:235], v[180:181], s[6:7], v[222:223]
	v_add_f64 v[182:183], v[192:193], v[182:183]
	v_add_f64 v[190:191], v[194:195], v[190:191]
	v_fma_f64 v[192:193], v[144:145], s[16:17], -v[228:229]
	v_fma_f64 v[194:195], v[146:147], s[36:37], v[230:231]
	v_add_f64 v[228:229], v[236:237], v[176:177]
	v_add_f64 v[230:231], v[238:239], v[178:179]
	v_fma_f64 v[236:237], v[120:121], s[20:21], v[240:241]
	v_fma_f64 v[238:239], v[122:123], s[24:25], v[242:243]
	v_mul_f64 v[244:245], v[138:139], s[34:35]
	v_mul_f64 v[246:247], v[136:137], s[4:5]
	v_add_f64 v[176:177], v[232:233], v[218:219]
	v_add_f64 v[178:179], v[234:235], v[216:217]
	;; [unrolled: 1-line block ×6, first 2 shown]
	v_fma_f64 v[216:217], v[132:133], s[4:5], v[244:245]
	v_fma_f64 v[218:219], v[134:135], s[6:7], v[246:247]
	v_mul_f64 v[228:229], v[150:151], s[14:15]
	v_fma_f64 v[220:221], v[184:185], s[4:5], -v[220:221]
	v_fma_f64 v[224:225], v[104:105], s[26:27], -v[224:225]
	v_fma_f64 v[226:227], v[106:107], s[30:31], v[226:227]
	v_mul_f64 v[230:231], v[148:149], s[8:9]
	v_fma_f64 v[222:223], v[180:181], s[34:35], v[222:223]
	v_add_f64 v[216:217], v[216:217], v[190:191]
	v_add_f64 v[194:195], v[218:219], v[194:195]
	v_fma_f64 v[218:219], v[144:145], s[8:9], v[228:229]
	v_add_f64 v[190:191], v[220:221], v[182:183]
	v_add_f64 v[164:165], v[224:225], v[164:165]
	;; [unrolled: 1-line block ×3, first 2 shown]
	v_fma_f64 v[182:183], v[120:121], s[20:21], -v[240:241]
	v_fma_f64 v[220:221], v[122:123], s[42:43], v[242:243]
	v_mul_f64 v[224:225], v[114:115], s[38:39]
	v_mul_f64 v[226:227], v[112:113], s[22:23]
	v_fma_f64 v[232:233], v[146:147], s[40:41], v[230:231]
	v_add_f64 v[192:193], v[222:223], v[192:193]
	v_add_f64 v[216:217], v[218:219], v[216:217]
	v_mul_f64 v[218:219], v[212:213], s[28:29]
	v_mul_f64 v[222:223], v[214:215], s[22:23]
	v_add_f64 v[164:165], v[182:183], v[164:165]
	v_add_f64 v[166:167], v[220:221], v[166:167]
	v_fma_f64 v[182:183], v[132:133], s[4:5], -v[244:245]
	v_fma_f64 v[220:221], v[134:135], s[34:35], v[246:247]
	v_fma_f64 v[236:237], v[104:105], s[22:23], v[224:225]
	v_fma_f64 v[238:239], v[106:107], s[28:29], v[226:227]
	v_mul_f64 v[240:241], v[126:127], s[34:35]
	v_mul_f64 v[242:243], v[124:125], s[4:5]
	v_add_f64 v[194:195], v[232:233], v[194:195]
	v_fma_f64 v[232:233], v[184:185], s[22:23], v[218:219]
	v_fma_f64 v[234:235], v[180:181], s[38:39], v[222:223]
	v_add_f64 v[164:165], v[182:183], v[164:165]
	v_add_f64 v[166:167], v[220:221], v[166:167]
	v_fma_f64 v[182:183], v[144:145], s[8:9], -v[228:229]
	v_fma_f64 v[220:221], v[146:147], s[14:15], v[230:231]
	v_add_f64 v[228:229], v[236:237], v[140:141]
	v_add_f64 v[230:231], v[238:239], v[142:143]
	v_fma_f64 v[236:237], v[120:121], s[4:5], v[240:241]
	v_fma_f64 v[238:239], v[122:123], s[6:7], v[242:243]
	v_mul_f64 v[244:245], v[138:139], s[18:19]
	v_mul_f64 v[246:247], v[136:137], s[16:17]
	v_add_f64 v[140:141], v[232:233], v[216:217]
	v_add_f64 v[142:143], v[234:235], v[194:195]
	;; [unrolled: 1-line block ×6, first 2 shown]
	v_fma_f64 v[216:217], v[132:133], s[16:17], v[244:245]
	v_fma_f64 v[220:221], v[134:135], s[36:37], v[246:247]
	v_mul_f64 v[228:229], v[150:151], s[44:45]
	v_mul_f64 v[230:231], v[148:149], s[26:27]
	v_fma_f64 v[224:225], v[104:105], s[22:23], -v[224:225]
	v_fma_f64 v[226:227], v[106:107], s[38:39], v[226:227]
	v_fma_f64 v[218:219], v[184:185], s[22:23], -v[218:219]
	v_fma_f64 v[222:223], v[180:181], s[28:29], v[222:223]
	v_add_f64 v[182:183], v[216:217], v[182:183]
	v_add_f64 v[194:195], v[220:221], v[194:195]
	v_fma_f64 v[216:217], v[144:145], s[26:27], v[228:229]
	v_fma_f64 v[220:221], v[146:147], s[30:31], v[230:231]
	v_add_f64 v[224:225], v[224:225], v[128:129]
	v_add_f64 v[226:227], v[226:227], v[130:131]
	v_fma_f64 v[232:233], v[120:121], s[4:5], -v[240:241]
	v_fma_f64 v[234:235], v[122:123], s[34:35], v[242:243]
	v_add_f64 v[128:129], v[218:219], v[164:165]
	v_add_f64 v[130:131], v[222:223], v[166:167]
	;; [unrolled: 1-line block ×4, first 2 shown]
	v_mul_f64 v[182:183], v[114:115], s[36:37]
	v_mul_f64 v[194:195], v[112:113], s[16:17]
	v_add_f64 v[216:217], v[232:233], v[224:225]
	v_add_f64 v[218:219], v[234:235], v[226:227]
	v_fma_f64 v[220:221], v[132:133], s[16:17], -v[244:245]
	v_fma_f64 v[222:223], v[134:135], s[18:19], v[246:247]
	v_mul_f64 v[236:237], v[126:127], s[14:15]
	v_mul_f64 v[238:239], v[124:125], s[8:9]
	v_fma_f64 v[232:233], v[104:105], s[16:17], v[182:183]
	v_fma_f64 v[234:235], v[106:107], s[18:19], v[194:195]
	v_mul_f64 v[244:245], v[150:151], s[34:35]
	v_mul_f64 v[246:247], v[148:149], s[4:5]
	v_add_f64 v[216:217], v[220:221], v[216:217]
	v_add_f64 v[218:219], v[222:223], v[218:219]
	v_fma_f64 v[220:221], v[144:145], s[26:27], -v[228:229]
	v_fma_f64 v[222:223], v[146:147], s[44:45], v[230:231]
	v_add_f64 v[116:117], v[232:233], v[116:117]
	v_add_f64 v[118:119], v[234:235], v[118:119]
	v_fma_f64 v[228:229], v[120:121], s[8:9], v[236:237]
	v_fma_f64 v[230:231], v[122:123], s[40:41], v[238:239]
	v_mul_f64 v[232:233], v[138:139], s[44:45]
	v_mul_f64 v[234:235], v[136:137], s[26:27]
	v_add_f64 v[216:217], v[220:221], v[216:217]
	v_add_f64 v[218:219], v[222:223], v[218:219]
	v_mul_f64 v[114:115], v[114:115], s[34:35]
	v_mul_f64 v[112:113], v[112:113], s[4:5]
	v_add_f64 v[220:221], v[228:229], v[116:117]
	v_add_f64 v[222:223], v[230:231], v[118:119]
	v_fma_f64 v[228:229], v[132:133], s[26:27], v[232:233]
	v_fma_f64 v[230:231], v[134:135], s[30:31], v[234:235]
	v_fma_f64 v[182:183], v[104:105], s[16:17], -v[182:183]
	v_fma_f64 v[194:195], v[106:107], s[36:37], v[194:195]
	v_mul_f64 v[224:225], v[212:213], s[40:41]
	v_mul_f64 v[226:227], v[214:215], s[8:9]
	v_add_f64 v[220:221], v[228:229], v[220:221]
	v_add_f64 v[222:223], v[230:231], v[222:223]
	v_fma_f64 v[228:229], v[144:145], s[4:5], v[244:245]
	v_fma_f64 v[230:231], v[146:147], s[6:7], v[246:247]
	v_add_f64 v[108:109], v[182:183], v[108:109]
	v_add_f64 v[110:111], v[194:195], v[110:111]
	v_fma_f64 v[240:241], v[184:185], s[8:9], v[224:225]
	v_fma_f64 v[242:243], v[180:181], s[14:15], v[226:227]
	v_fma_f64 v[224:225], v[184:185], s[8:9], -v[224:225]
	v_fma_f64 v[226:227], v[180:181], s[40:41], v[226:227]
	v_add_f64 v[220:221], v[228:229], v[220:221]
	v_add_f64 v[222:223], v[230:231], v[222:223]
	v_fma_f64 v[228:229], v[104:105], s[4:5], v[114:115]
	v_fma_f64 v[230:231], v[106:107], s[6:7], v[112:113]
	v_fma_f64 v[104:105], v[104:105], s[4:5], -v[114:115]
	v_fma_f64 v[106:107], v[106:107], s[34:35], v[112:113]
	v_mul_f64 v[112:113], v[126:127], s[28:29]
	v_mul_f64 v[114:115], v[124:125], s[22:23]
	v_add_f64 v[116:117], v[240:241], v[164:165]
	v_add_f64 v[118:119], v[242:243], v[166:167]
	;; [unrolled: 1-line block ×3, first 2 shown]
	v_fma_f64 v[168:169], v[120:121], s[8:9], -v[236:237]
	v_add_f64 v[104:105], v[104:105], v[172:173]
	v_add_f64 v[126:127], v[230:231], v[170:171]
	v_fma_f64 v[172:173], v[120:121], s[22:23], v[112:113]
	v_fma_f64 v[112:113], v[120:121], s[22:23], -v[112:113]
	v_mul_f64 v[120:121], v[138:139], s[40:41]
	v_fma_f64 v[170:171], v[122:123], s[14:15], v[238:239]
	v_add_f64 v[106:107], v[106:107], v[174:175]
	v_fma_f64 v[174:175], v[122:123], s[38:39], v[114:115]
	v_fma_f64 v[114:115], v[122:123], s[28:29], v[114:115]
	v_mul_f64 v[122:123], v[136:137], s[8:9]
	v_add_f64 v[108:109], v[168:169], v[108:109]
	v_add_f64 v[124:125], v[172:173], v[124:125]
	v_fma_f64 v[136:137], v[132:133], s[26:27], -v[232:233]
	v_add_f64 v[104:105], v[112:113], v[104:105]
	v_fma_f64 v[112:113], v[132:133], s[8:9], v[120:121]
	v_add_f64 v[110:111], v[170:171], v[110:111]
	v_add_f64 v[126:127], v[174:175], v[126:127]
	v_fma_f64 v[138:139], v[134:135], s[44:45], v[234:235]
	v_add_f64 v[106:107], v[114:115], v[106:107]
	v_fma_f64 v[114:115], v[134:135], s[14:15], v[122:123]
	v_fma_f64 v[120:121], v[132:133], s[8:9], -v[120:121]
	v_add_f64 v[108:109], v[136:137], v[108:109]
	v_mul_f64 v[132:133], v[150:151], s[24:25]
	v_add_f64 v[112:113], v[112:113], v[124:125]
	v_fma_f64 v[124:125], v[144:145], s[4:5], -v[244:245]
	v_fma_f64 v[122:123], v[134:135], s[40:41], v[122:123]
	v_add_f64 v[110:111], v[138:139], v[110:111]
	v_mul_f64 v[134:135], v[148:149], s[20:21]
	v_add_f64 v[114:115], v[114:115], v[126:127]
	v_fma_f64 v[126:127], v[146:147], s[34:35], v[246:247]
	v_add_f64 v[104:105], v[120:121], v[104:105]
	v_fma_f64 v[120:121], v[144:145], s[20:21], v[132:133]
	v_fma_f64 v[132:133], v[144:145], s[20:21], -v[132:133]
	v_add_f64 v[108:109], v[124:125], v[108:109]
	v_mul_f64 v[124:125], v[212:213], s[36:37]
	v_add_f64 v[164:165], v[224:225], v[216:217]
	v_add_f64 v[166:167], v[226:227], v[218:219]
	v_mul_f64 v[216:217], v[212:213], s[24:25]
	v_mul_f64 v[218:219], v[214:215], s[20:21]
	v_add_f64 v[106:107], v[122:123], v[106:107]
	v_fma_f64 v[122:123], v[146:147], s[42:43], v[134:135]
	v_add_f64 v[110:111], v[126:127], v[110:111]
	v_mul_f64 v[126:127], v[214:215], s[16:17]
	v_fma_f64 v[134:135], v[146:147], s[24:25], v[134:135]
	v_add_f64 v[112:113], v[120:121], v[112:113]
	v_add_f64 v[120:121], v[132:133], v[104:105]
	v_fma_f64 v[136:137], v[184:185], s[16:17], v[124:125]
	v_fma_f64 v[124:125], v[184:185], s[16:17], -v[124:125]
	v_fma_f64 v[224:225], v[184:185], s[20:21], v[216:217]
	v_fma_f64 v[226:227], v[180:181], s[42:43], v[218:219]
	v_add_f64 v[114:115], v[122:123], v[114:115]
	v_fma_f64 v[138:139], v[180:181], s[18:19], v[126:127]
	v_add_f64 v[122:123], v[134:135], v[106:107]
	v_fma_f64 v[126:127], v[180:181], s[36:37], v[126:127]
	v_fma_f64 v[132:133], v[184:185], s[20:21], -v[216:217]
	v_fma_f64 v[134:135], v[180:181], s[24:25], v[218:219]
	v_add_f64 v[120:121], v[124:125], v[120:121]
	v_lshrrev_b32_e32 v124, 2, v154
	v_add_f64 v[104:105], v[224:225], v[220:221]
	v_add_f64 v[106:107], v[226:227], v[222:223]
	v_mul_u32_u24_e32 v124, 52, v124
	v_add_f64 v[112:113], v[136:137], v[112:113]
	v_add_f64 v[114:115], v[138:139], v[114:115]
	v_or_b32_e32 v124, v124, v207
	v_add_f64 v[122:123], v[126:127], v[122:123]
	v_lshl_add_u32 v124, v124, 4, 0
	v_add_f64 v[108:109], v[132:133], v[108:109]
	v_add_f64 v[110:111], v[134:135], v[110:111]
	ds_write_b128 v124, v[100:103]
	ds_write_b128 v124, v[186:189] offset:64
	ds_write_b128 v124, v[176:179] offset:128
	;; [unrolled: 1-line block ×12, first 2 shown]
	s_and_saveexec_b64 s[46:47], vcc
	s_cbranch_execz .LBB0_23
; %bb.22:
	v_mul_f64 v[100:101], v[30:31], v[90:91]
	v_mul_f64 v[102:103], v[34:35], v[94:95]
	;; [unrolled: 1-line block ×7, first 2 shown]
	v_fma_f64 v[94:95], v[28:29], v[88:89], v[100:101]
	v_fma_f64 v[98:99], v[32:33], v[92:93], v[102:103]
	v_mul_f64 v[100:101], v[26:27], v[70:71]
	v_fma_f64 v[32:33], v[36:37], v[96:97], v[104:105]
	v_mul_f64 v[104:105], v[40:41], v[86:87]
	v_mul_f64 v[102:103], v[28:29], v[90:91]
	v_fma_f64 v[86:87], v[34:35], v[92:93], -v[108:109]
	v_fma_f64 v[34:35], v[38:39], v[96:97], -v[110:111]
	v_fma_f64 v[36:37], v[40:41], v[84:85], v[106:107]
	v_fma_f64 v[90:91], v[16:17], v[64:65], v[112:113]
	;; [unrolled: 1-line block ×3, first 2 shown]
	v_mul_f64 v[100:101], v[10:11], v[62:63]
	v_fma_f64 v[38:39], v[42:43], v[84:85], -v[104:105]
	v_mul_f64 v[42:43], v[16:17], v[66:67]
	v_fma_f64 v[40:41], v[30:31], v[88:89], -v[102:103]
	v_mul_f64 v[96:97], v[22:23], v[74:75]
	v_mul_f64 v[102:103], v[50:51], v[78:79]
	;; [unrolled: 1-line block ×4, first 2 shown]
	v_fma_f64 v[70:71], v[8:9], v[60:61], v[100:101]
	v_mul_f64 v[8:9], v[8:9], v[62:63]
	v_fma_f64 v[64:65], v[18:19], v[64:65], -v[42:43]
	v_mul_f64 v[42:43], v[6:7], v[58:59]
	v_mul_f64 v[78:79], v[48:49], v[78:79]
	;; [unrolled: 1-line block ×3, first 2 shown]
	v_fma_f64 v[24:25], v[20:21], v[72:73], v[96:97]
	v_fma_f64 v[18:19], v[48:49], v[76:77], v[102:103]
	;; [unrolled: 1-line block ×3, first 2 shown]
	v_mul_f64 v[44:45], v[44:45], v[82:83]
	v_fma_f64 v[96:97], v[10:11], v[60:61], -v[8:9]
	v_fma_f64 v[62:63], v[4:5], v[56:57], v[42:43]
	v_mul_f64 v[4:5], v[4:5], v[58:59]
	v_fma_f64 v[42:43], v[50:51], v[76:77], -v[78:79]
	v_fma_f64 v[66:67], v[12:13], v[52:53], v[66:67]
	v_mul_f64 v[12:13], v[12:13], v[54:55]
	v_add_f64 v[110:111], v[70:71], -v[18:19]
	v_mul_f64 v[8:9], v[20:21], v[74:75]
	v_fma_f64 v[20:21], v[46:47], v[80:81], -v[44:45]
	v_add_f64 v[108:109], v[62:63], -v[48:49]
	v_fma_f64 v[50:51], v[6:7], v[56:57], -v[4:5]
	v_add_f64 v[74:75], v[96:97], -v[42:43]
	v_add_f64 v[60:61], v[96:97], v[42:43]
	v_fma_f64 v[44:45], v[14:15], v[52:53], -v[12:13]
	v_mul_f64 v[4:5], v[110:111], s[30:31]
	v_fma_f64 v[22:23], v[22:23], v[72:73], -v[8:9]
	v_add_f64 v[72:73], v[70:71], v[18:19]
	v_add_f64 v[106:107], v[66:67], -v[24:25]
	v_add_f64 v[76:77], v[50:51], -v[20:21]
	v_mul_f64 v[8:9], v[74:75], s[30:31]
	v_mul_f64 v[6:7], v[108:109], s[34:35]
	v_add_f64 v[54:55], v[50:51], v[20:21]
	v_fma_f64 v[26:27], v[26:27], v[68:69], -v[104:105]
	v_fma_f64 v[10:11], v[60:61], s[26:27], v[4:5]
	v_add_f64 v[78:79], v[44:45], -v[22:23]
	v_add_f64 v[68:69], v[62:63], v[48:49]
	v_mul_f64 v[120:121], v[76:77], s[34:35]
	v_fma_f64 v[56:57], v[72:73], s[26:27], -v[8:9]
	v_add_f64 v[88:89], v[90:91], -v[28:29]
	v_mul_f64 v[12:13], v[106:107], s[28:29]
	v_add_f64 v[52:53], v[44:45], v[22:23]
	v_fma_f64 v[14:15], v[54:55], s[4:5], v[6:7]
	v_add_f64 v[10:11], v[2:3], v[10:11]
	v_add_f64 v[100:101], v[64:65], -v[26:27]
	v_add_f64 v[58:59], v[66:67], v[24:25]
	v_mul_f64 v[122:123], v[78:79], s[28:29]
	v_fma_f64 v[82:83], v[68:69], s[4:5], -v[120:121]
	v_add_f64 v[104:105], v[0:1], v[56:57]
	v_add_f64 v[92:93], v[98:99], -v[32:33]
	v_mul_f64 v[116:117], v[88:89], s[40:41]
	v_add_f64 v[46:47], v[64:65], v[26:27]
	v_fma_f64 v[80:81], v[52:53], s[22:23], v[12:13]
	v_add_f64 v[10:11], v[14:15], v[10:11]
	v_add_f64 v[102:103], v[86:87], -v[34:35]
	v_add_f64 v[56:57], v[90:91], v[28:29]
	v_mul_f64 v[124:125], v[100:101], s[40:41]
	v_fma_f64 v[126:127], v[58:59], s[22:23], -v[122:123]
	v_fma_f64 v[4:5], v[60:61], s[26:27], -v[4:5]
	v_add_f64 v[128:129], v[82:83], v[104:105]
	v_add_f64 v[84:85], v[94:95], -v[36:37]
	v_add_f64 v[30:31], v[86:87], v[34:35]
	v_mul_f64 v[112:113], v[92:93], s[24:25]
	v_fma_f64 v[14:15], v[46:47], s[8:9], v[116:117]
	v_add_f64 v[10:11], v[80:81], v[10:11]
	v_add_f64 v[104:105], v[40:41], -v[38:39]
	v_add_f64 v[82:83], v[98:99], v[32:33]
	v_mul_f64 v[130:131], v[102:103], s[24:25]
	v_fma_f64 v[132:133], v[56:57], s[8:9], -v[124:125]
	v_fma_f64 v[6:7], v[54:55], s[4:5], -v[6:7]
	v_add_f64 v[4:5], v[2:3], v[4:5]
	v_add_f64 v[126:127], v[126:127], v[128:129]
	;; [unrolled: 1-line block ×3, first 2 shown]
	v_mul_f64 v[114:115], v[84:85], s[36:37]
	v_fma_f64 v[118:119], v[30:31], s[20:21], v[112:113]
	v_add_f64 v[10:11], v[14:15], v[10:11]
	v_add_f64 v[80:81], v[94:95], v[36:37]
	v_mul_f64 v[14:15], v[104:105], s[36:37]
	v_fma_f64 v[128:129], v[82:83], s[20:21], -v[130:131]
	v_fma_f64 v[12:13], v[52:53], s[22:23], -v[12:13]
	v_add_f64 v[4:5], v[6:7], v[4:5]
	v_add_f64 v[6:7], v[132:133], v[126:127]
	v_fma_f64 v[8:9], v[72:73], s[26:27], v[8:9]
	v_fma_f64 v[126:127], v[16:17], s[16:17], v[114:115]
	v_add_f64 v[10:11], v[118:119], v[10:11]
	v_fma_f64 v[118:119], v[80:81], s[16:17], -v[14:15]
	v_fma_f64 v[116:117], v[46:47], s[8:9], -v[116:117]
	v_fma_f64 v[120:121], v[68:69], s[4:5], v[120:121]
	v_add_f64 v[4:5], v[12:13], v[4:5]
	v_add_f64 v[12:13], v[128:129], v[6:7]
	;; [unrolled: 1-line block ×3, first 2 shown]
	v_mul_f64 v[132:133], v[78:79], s[14:15]
	v_add_f64 v[6:7], v[126:127], v[10:11]
	v_fma_f64 v[10:11], v[30:31], s[20:21], -v[112:113]
	v_fma_f64 v[112:113], v[58:59], s[22:23], v[122:123]
	v_mul_f64 v[122:123], v[110:111], s[28:29]
	v_add_f64 v[116:117], v[116:117], v[4:5]
	v_add_f64 v[4:5], v[118:119], v[12:13]
	v_mul_f64 v[118:119], v[74:75], s[28:29]
	v_add_f64 v[8:9], v[120:121], v[8:9]
	v_fma_f64 v[12:13], v[16:17], s[16:17], -v[114:115]
	v_fma_f64 v[114:115], v[56:57], s[8:9], v[124:125]
	v_mul_f64 v[120:121], v[108:109], s[36:37]
	v_fma_f64 v[124:125], v[60:61], s[22:23], v[122:123]
	v_mul_f64 v[126:127], v[76:77], s[36:37]
	v_add_f64 v[10:11], v[10:11], v[116:117]
	v_fma_f64 v[128:129], v[72:73], s[22:23], -v[118:119]
	v_add_f64 v[8:9], v[112:113], v[8:9]
	v_fma_f64 v[112:113], v[82:83], s[20:21], v[130:131]
	v_mul_f64 v[116:117], v[106:107], s[14:15]
	v_fma_f64 v[130:131], v[54:55], s[16:17], v[120:121]
	v_add_f64 v[124:125], v[2:3], v[124:125]
	v_fma_f64 v[134:135], v[68:69], s[16:17], -v[126:127]
	v_fma_f64 v[122:123], v[60:61], s[22:23], -v[122:123]
	v_add_f64 v[128:129], v[0:1], v[128:129]
	v_add_f64 v[8:9], v[114:115], v[8:9]
	v_fma_f64 v[114:115], v[80:81], s[16:17], v[14:15]
	v_mul_f64 v[14:15], v[88:89], s[44:45]
	v_fma_f64 v[136:137], v[52:53], s[8:9], v[116:117]
	v_add_f64 v[124:125], v[130:131], v[124:125]
	v_mul_f64 v[130:131], v[100:101], s[44:45]
	v_fma_f64 v[138:139], v[58:59], s[8:9], -v[132:133]
	v_add_f64 v[128:129], v[134:135], v[128:129]
	v_mul_f64 v[140:141], v[102:103], s[34:35]
	v_fma_f64 v[120:121], v[54:55], s[16:17], -v[120:121]
	v_fma_f64 v[134:135], v[46:47], s[26:27], v[14:15]
	v_add_f64 v[122:123], v[2:3], v[122:123]
	v_add_f64 v[124:125], v[136:137], v[124:125]
	v_fma_f64 v[142:143], v[56:57], s[26:27], -v[130:131]
	v_add_f64 v[8:9], v[112:113], v[8:9]
	v_add_f64 v[128:129], v[138:139], v[128:129]
	v_mul_f64 v[112:113], v[92:93], s[34:35]
	v_fma_f64 v[116:117], v[52:53], s[8:9], -v[116:117]
	v_fma_f64 v[118:119], v[72:73], s[22:23], v[118:119]
	v_add_f64 v[120:121], v[120:121], v[122:123]
	v_add_f64 v[124:125], v[134:135], v[124:125]
	v_mul_f64 v[134:135], v[104:105], s[24:25]
	v_fma_f64 v[122:123], v[82:83], s[4:5], -v[140:141]
	v_add_f64 v[128:129], v[142:143], v[128:129]
	v_mul_f64 v[136:137], v[84:85], s[24:25]
	v_fma_f64 v[138:139], v[30:31], s[4:5], v[112:113]
	v_fma_f64 v[126:127], v[68:69], s[16:17], v[126:127]
	v_add_f64 v[118:119], v[0:1], v[118:119]
	v_add_f64 v[116:117], v[116:117], v[120:121]
	v_fma_f64 v[120:121], v[80:81], s[20:21], -v[134:135]
	v_fma_f64 v[112:113], v[30:31], s[4:5], -v[112:113]
	v_add_f64 v[122:123], v[122:123], v[128:129]
	v_fma_f64 v[142:143], v[16:17], s[20:21], v[136:137]
	v_add_f64 v[124:125], v[138:139], v[124:125]
	v_fma_f64 v[138:139], v[46:47], s[26:27], -v[14:15]
	v_add_f64 v[14:15], v[12:13], v[10:11]
	v_add_f64 v[12:13], v[114:115], v[8:9]
	v_fma_f64 v[114:115], v[58:59], s[8:9], v[132:133]
	v_add_f64 v[118:119], v[126:127], v[118:119]
	v_add_f64 v[8:9], v[120:121], v[122:123]
	v_mul_f64 v[120:121], v[110:111], s[24:25]
	v_add_f64 v[10:11], v[142:143], v[124:125]
	v_add_f64 v[116:117], v[138:139], v[116:117]
	v_fma_f64 v[124:125], v[56:57], s[26:27], v[130:131]
	v_mul_f64 v[126:127], v[74:75], s[24:25]
	v_fma_f64 v[122:123], v[16:17], s[20:21], -v[136:137]
	v_add_f64 v[114:115], v[114:115], v[118:119]
	v_mul_f64 v[118:119], v[108:109], s[38:39]
	v_fma_f64 v[128:129], v[60:61], s[20:21], v[120:121]
	v_fma_f64 v[120:121], v[60:61], s[20:21], -v[120:121]
	v_add_f64 v[112:113], v[112:113], v[116:117]
	v_fma_f64 v[116:117], v[80:81], s[20:21], v[134:135]
	v_mul_f64 v[132:133], v[76:77], s[38:39]
	v_fma_f64 v[134:135], v[72:73], s[20:21], -v[126:127]
	v_add_f64 v[114:115], v[124:125], v[114:115]
	v_mul_f64 v[124:125], v[106:107], s[34:35]
	v_fma_f64 v[136:137], v[54:55], s[22:23], v[118:119]
	v_fma_f64 v[118:119], v[54:55], s[22:23], -v[118:119]
	v_add_f64 v[120:121], v[2:3], v[120:121]
	v_fma_f64 v[130:131], v[82:83], s[4:5], v[140:141]
	v_add_f64 v[128:129], v[2:3], v[128:129]
	v_mul_f64 v[138:139], v[78:79], s[34:35]
	v_fma_f64 v[140:141], v[68:69], s[22:23], -v[132:133]
	v_add_f64 v[134:135], v[0:1], v[134:135]
	v_mul_f64 v[142:143], v[88:89], s[18:19]
	v_fma_f64 v[144:145], v[52:53], s[4:5], v[124:125]
	v_fma_f64 v[124:125], v[52:53], s[4:5], -v[124:125]
	v_add_f64 v[118:119], v[118:119], v[120:121]
	v_add_f64 v[128:129], v[136:137], v[128:129]
	v_mul_f64 v[136:137], v[100:101], s[18:19]
	v_fma_f64 v[146:147], v[58:59], s[4:5], -v[138:139]
	v_add_f64 v[134:135], v[140:141], v[134:135]
	v_mul_f64 v[120:121], v[92:93], s[44:45]
	v_fma_f64 v[140:141], v[46:47], s[16:17], v[142:143]
	v_fma_f64 v[142:143], v[46:47], s[16:17], -v[142:143]
	v_add_f64 v[118:119], v[124:125], v[118:119]
	;; [unrolled: 8-line block ×3, first 2 shown]
	v_add_f64 v[128:129], v[140:141], v[128:129]
	v_mul_f64 v[140:141], v[104:105], s[40:41]
	v_fma_f64 v[150:151], v[82:83], s[26:27], -v[144:145]
	v_add_f64 v[134:135], v[148:149], v[134:135]
	v_add_f64 v[130:131], v[130:131], v[114:115]
	v_fma_f64 v[142:143], v[16:17], s[8:9], v[124:125]
	v_fma_f64 v[126:127], v[72:73], s[20:21], v[126:127]
	v_fma_f64 v[124:125], v[16:17], s[8:9], -v[124:125]
	v_add_f64 v[120:121], v[120:121], v[118:119]
	v_add_f64 v[128:129], v[146:147], v[128:129]
	v_fma_f64 v[146:147], v[80:81], s[8:9], -v[140:141]
	v_add_f64 v[134:135], v[150:151], v[134:135]
	v_add_f64 v[114:115], v[122:123], v[112:113]
	;; [unrolled: 1-line block ×3, first 2 shown]
	v_fma_f64 v[130:131], v[68:69], s[22:23], v[132:133]
	v_mul_f64 v[132:133], v[110:111], s[18:19]
	v_add_f64 v[126:127], v[0:1], v[126:127]
	v_add_f64 v[122:123], v[124:125], v[120:121]
	v_mul_f64 v[124:125], v[74:75], s[18:19]
	v_add_f64 v[118:119], v[142:143], v[128:129]
	v_add_f64 v[116:117], v[146:147], v[134:135]
	v_fma_f64 v[120:121], v[58:59], s[4:5], v[138:139]
	v_mul_f64 v[128:129], v[108:109], s[30:31]
	v_fma_f64 v[134:135], v[60:61], s[16:17], v[132:133]
	v_add_f64 v[126:127], v[130:131], v[126:127]
	v_fma_f64 v[130:131], v[80:81], s[8:9], v[140:141]
	v_mul_f64 v[140:141], v[76:77], s[30:31]
	v_fma_f64 v[142:143], v[72:73], s[16:17], -v[124:125]
	v_fma_f64 v[136:137], v[56:57], s[16:17], v[136:137]
	v_mul_f64 v[148:149], v[78:79], s[42:43]
	v_fma_f64 v[146:147], v[54:55], s[26:27], v[128:129]
	v_add_f64 v[134:135], v[2:3], v[134:135]
	v_add_f64 v[120:121], v[120:121], v[126:127]
	v_fma_f64 v[132:133], v[60:61], s[16:17], -v[132:133]
	v_fma_f64 v[150:151], v[68:69], s[26:27], -v[140:141]
	v_add_f64 v[142:143], v[0:1], v[142:143]
	v_mul_f64 v[138:139], v[106:107], s[42:43]
	v_fma_f64 v[126:127], v[82:83], s[26:27], v[144:145]
	v_fma_f64 v[166:167], v[58:59], s[20:21], -v[148:149]
	v_add_f64 v[134:135], v[146:147], v[134:135]
	v_add_f64 v[120:121], v[136:137], v[120:121]
	v_mul_f64 v[146:147], v[100:101], s[34:35]
	v_fma_f64 v[128:129], v[54:55], s[26:27], -v[128:129]
	v_add_f64 v[142:143], v[150:151], v[142:143]
	v_add_f64 v[132:133], v[2:3], v[132:133]
	;; [unrolled: 1-line block ×4, first 2 shown]
	v_mul_f64 v[144:145], v[88:89], s[34:35]
	v_add_f64 v[120:121], v[126:127], v[120:121]
	v_fma_f64 v[170:171], v[56:57], s[4:5], -v[146:147]
	v_fma_f64 v[126:127], v[52:53], s[20:21], -v[138:139]
	v_add_f64 v[142:143], v[166:167], v[142:143]
	v_add_f64 v[128:129], v[128:129], v[132:133]
	v_fma_f64 v[124:125], v[72:73], s[16:17], v[124:125]
	v_add_f64 v[50:51], v[96:97], v[50:51]
	v_add_f64 v[62:63], v[70:71], v[62:63]
	v_fma_f64 v[164:165], v[52:53], s[20:21], v[138:139]
	v_fma_f64 v[150:151], v[46:47], s[4:5], v[144:145]
	v_fma_f64 v[144:145], v[46:47], s[4:5], -v[144:145]
	v_add_f64 v[142:143], v[170:171], v[142:143]
	v_add_f64 v[126:127], v[126:127], v[128:129]
	v_mul_f64 v[170:171], v[74:75], s[14:15]
	v_fma_f64 v[140:141], v[68:69], s[26:27], v[140:141]
	v_add_f64 v[124:125], v[0:1], v[124:125]
	v_add_f64 v[44:45], v[50:51], v[44:45]
	;; [unrolled: 1-line block ×3, first 2 shown]
	v_mul_f64 v[136:137], v[92:93], s[14:15]
	v_add_f64 v[134:135], v[164:165], v[134:135]
	v_mul_f64 v[168:169], v[102:103], s[14:15]
	v_add_f64 v[126:127], v[144:145], v[126:127]
	v_mul_f64 v[144:145], v[76:77], s[24:25]
	v_fma_f64 v[174:175], v[72:73], s[8:9], -v[170:171]
	v_fma_f64 v[148:149], v[58:59], s[20:21], v[148:149]
	v_add_f64 v[124:125], v[140:141], v[124:125]
	v_add_f64 v[44:45], v[44:45], v[64:65]
	;; [unrolled: 1-line block ×3, first 2 shown]
	v_mul_f64 v[164:165], v[84:85], s[28:29]
	v_fma_f64 v[166:167], v[30:31], s[8:9], v[136:137]
	v_add_f64 v[134:135], v[150:151], v[134:135]
	v_mul_f64 v[132:133], v[104:105], s[28:29]
	v_fma_f64 v[138:139], v[82:83], s[8:9], -v[168:169]
	v_fma_f64 v[136:137], v[30:31], s[8:9], -v[136:137]
	v_mul_f64 v[180:181], v[78:79], s[30:31]
	v_fma_f64 v[182:183], v[68:69], s[20:21], -v[144:145]
	v_add_f64 v[174:175], v[0:1], v[174:175]
	v_fma_f64 v[146:147], v[56:57], s[4:5], v[146:147]
	v_add_f64 v[124:125], v[148:149], v[124:125]
	v_add_f64 v[44:45], v[44:45], v[86:87]
	;; [unrolled: 1-line block ×3, first 2 shown]
	v_fma_f64 v[150:151], v[16:17], s[22:23], v[164:165]
	v_add_f64 v[134:135], v[166:167], v[134:135]
	v_mul_f64 v[166:167], v[110:111], s[14:15]
	v_fma_f64 v[128:129], v[80:81], s[22:23], -v[132:133]
	v_add_f64 v[138:139], v[138:139], v[142:143]
	v_fma_f64 v[186:187], v[58:59], s[26:27], -v[180:181]
	v_add_f64 v[174:175], v[182:183], v[174:175]
	v_mul_f64 v[148:149], v[92:93], s[36:37]
	v_fma_f64 v[168:169], v[82:83], s[8:9], v[168:169]
	v_add_f64 v[124:125], v[146:147], v[124:125]
	v_fma_f64 v[164:165], v[16:17], s[22:23], -v[164:165]
	v_add_f64 v[136:137], v[136:137], v[126:127]
	v_mul_f64 v[110:111], v[110:111], s[6:7]
	v_mul_f64 v[74:75], v[74:75], s[6:7]
	v_add_f64 v[40:41], v[44:45], v[40:41]
	v_add_f64 v[44:45], v[50:51], v[94:95]
	v_mul_f64 v[142:143], v[108:109], s[24:25]
	v_fma_f64 v[172:173], v[60:61], s[8:9], v[166:167]
	v_add_f64 v[174:175], v[186:187], v[174:175]
	v_fma_f64 v[186:187], v[30:31], s[16:17], v[148:149]
	v_add_f64 v[168:169], v[168:169], v[124:125]
	v_add_f64 v[120:121], v[130:131], v[120:121]
	;; [unrolled: 1-line block ×5, first 2 shown]
	v_fma_f64 v[136:137], v[60:61], s[8:9], -v[166:167]
	v_fma_f64 v[138:139], v[30:31], s[16:17], -v[148:149]
	v_fma_f64 v[148:149], v[72:73], s[8:9], v[170:171]
	v_mul_f64 v[108:109], v[108:109], s[14:15]
	v_fma_f64 v[150:151], v[60:61], s[4:5], v[110:111]
	v_fma_f64 v[60:61], v[60:61], s[4:5], -v[110:111]
	v_mul_f64 v[76:77], v[76:77], s[14:15]
	v_fma_f64 v[50:51], v[72:73], s[4:5], v[74:75]
	v_fma_f64 v[72:73], v[72:73], s[4:5], -v[74:75]
	v_add_f64 v[38:39], v[40:41], v[38:39]
	v_add_f64 v[36:37], v[44:45], v[36:37]
	v_mul_f64 v[176:177], v[106:107], s[30:31]
	v_fma_f64 v[178:179], v[54:55], s[20:21], v[142:143]
	v_add_f64 v[172:173], v[2:3], v[172:173]
	v_fma_f64 v[142:143], v[54:55], s[20:21], -v[142:143]
	v_add_f64 v[136:137], v[2:3], v[136:137]
	v_fma_f64 v[144:145], v[68:69], s[20:21], v[144:145]
	v_add_f64 v[148:149], v[0:1], v[148:149]
	v_mul_f64 v[106:107], v[106:107], s[18:19]
	v_fma_f64 v[166:167], v[54:55], s[8:9], v[108:109]
	v_add_f64 v[150:151], v[2:3], v[150:151]
	v_mul_f64 v[78:79], v[78:79], s[18:19]
	v_fma_f64 v[54:55], v[54:55], s[8:9], -v[108:109]
	v_add_f64 v[2:3], v[2:3], v[60:61]
	v_fma_f64 v[60:61], v[68:69], s[8:9], v[76:77]
	v_add_f64 v[40:41], v[0:1], v[50:51]
	v_fma_f64 v[44:45], v[68:69], s[8:9], -v[76:77]
	v_add_f64 v[0:1], v[0:1], v[72:73]
	v_add_f64 v[34:35], v[38:39], v[34:35]
	;; [unrolled: 1-line block ×3, first 2 shown]
	v_mul_f64 v[140:141], v[88:89], s[38:39]
	v_fma_f64 v[184:185], v[52:53], s[26:27], v[176:177]
	v_add_f64 v[172:173], v[178:179], v[172:173]
	v_mul_f64 v[178:179], v[100:101], s[38:39]
	v_fma_f64 v[164:165], v[52:53], s[26:27], -v[176:177]
	v_add_f64 v[136:137], v[142:143], v[136:137]
	v_fma_f64 v[142:143], v[58:59], s[26:27], v[180:181]
	v_add_f64 v[144:145], v[144:145], v[148:149]
	v_mul_f64 v[88:89], v[88:89], s[24:25]
	v_fma_f64 v[148:149], v[52:53], s[16:17], v[106:107]
	v_mul_f64 v[100:101], v[100:101], s[24:25]
	v_fma_f64 v[50:51], v[52:53], s[16:17], -v[106:107]
	v_add_f64 v[2:3], v[54:55], v[2:3]
	v_fma_f64 v[52:53], v[58:59], s[16:17], v[78:79]
	v_add_f64 v[36:37], v[60:61], v[40:41]
	v_add_f64 v[150:151], v[166:167], v[150:151]
	v_fma_f64 v[38:39], v[58:59], s[16:17], -v[78:79]
	v_add_f64 v[0:1], v[44:45], v[0:1]
	v_add_f64 v[26:27], v[34:35], v[26:27]
	;; [unrolled: 1-line block ×3, first 2 shown]
	v_fma_f64 v[182:183], v[46:47], s[22:23], v[140:141]
	v_add_f64 v[172:173], v[184:185], v[172:173]
	v_mul_f64 v[184:185], v[102:103], s[36:37]
	v_fma_f64 v[140:141], v[46:47], s[22:23], -v[140:141]
	v_add_f64 v[70:71], v[164:165], v[136:137]
	v_fma_f64 v[96:97], v[56:57], s[22:23], v[178:179]
	v_add_f64 v[136:137], v[142:143], v[144:145]
	v_mul_f64 v[92:93], v[92:93], s[28:29]
	v_mul_f64 v[98:99], v[102:103], s[28:29]
	v_fma_f64 v[40:41], v[46:47], s[20:21], -v[88:89]
	v_add_f64 v[2:3], v[50:51], v[2:3]
	v_fma_f64 v[44:45], v[56:57], s[20:21], v[100:101]
	v_add_f64 v[32:33], v[52:53], v[36:37]
	v_fma_f64 v[188:189], v[56:57], s[22:23], -v[178:179]
	v_fma_f64 v[142:143], v[46:47], s[20:21], v[88:89]
	v_add_f64 v[144:145], v[148:149], v[150:151]
	v_fma_f64 v[34:35], v[56:57], s[20:21], -v[100:101]
	v_add_f64 v[0:1], v[38:39], v[0:1]
	v_add_f64 v[22:23], v[26:27], v[22:23]
	;; [unrolled: 1-line block ×3, first 2 shown]
	v_mul_f64 v[146:147], v[84:85], s[34:35]
	v_add_f64 v[62:63], v[140:141], v[70:71]
	v_fma_f64 v[66:67], v[82:83], s[16:17], v[184:185]
	v_add_f64 v[70:71], v[96:97], v[136:137]
	v_mul_f64 v[84:85], v[84:85], s[30:31]
	v_fma_f64 v[96:97], v[30:31], s[22:23], v[92:93]
	v_mul_f64 v[86:87], v[104:105], s[30:31]
	v_fma_f64 v[30:31], v[30:31], s[22:23], -v[92:93]
	v_add_f64 v[2:3], v[40:41], v[2:3]
	v_fma_f64 v[36:37], v[82:83], s[22:23], v[98:99]
	v_add_f64 v[26:27], v[44:45], v[32:33]
	v_add_f64 v[172:173], v[182:183], v[172:173]
	v_mul_f64 v[182:183], v[104:105], s[34:35]
	v_fma_f64 v[190:191], v[82:83], s[16:17], -v[184:185]
	v_add_f64 v[174:175], v[188:189], v[174:175]
	v_add_f64 v[136:137], v[142:143], v[144:145]
	v_fma_f64 v[28:29], v[82:83], s[22:23], -v[98:99]
	v_add_f64 v[0:1], v[34:35], v[0:1]
	v_add_f64 v[22:23], v[22:23], v[20:21]
	;; [unrolled: 1-line block ×3, first 2 shown]
	v_fma_f64 v[188:189], v[16:17], s[4:5], v[146:147]
	v_fma_f64 v[64:65], v[16:17], s[4:5], -v[146:147]
	v_add_f64 v[66:67], v[66:67], v[70:71]
	v_fma_f64 v[70:71], v[16:17], s[26:27], v[84:85]
	v_fma_f64 v[16:17], v[16:17], s[26:27], -v[84:85]
	v_add_f64 v[30:31], v[30:31], v[2:3]
	v_fma_f64 v[32:33], v[80:81], s[26:27], v[86:87]
	v_add_f64 v[26:27], v[36:37], v[26:27]
	v_add_f64 v[62:63], v[138:139], v[62:63]
	v_fma_f64 v[90:91], v[80:81], s[4:5], v[182:183]
	v_fma_f64 v[132:133], v[80:81], s[22:23], v[132:133]
	v_add_f64 v[172:173], v[186:187], v[172:173]
	v_fma_f64 v[186:187], v[80:81], s[4:5], -v[182:183]
	v_add_f64 v[174:175], v[190:191], v[174:175]
	v_add_f64 v[96:97], v[96:97], v[136:137]
	v_fma_f64 v[36:37], v[80:81], s[26:27], -v[86:87]
	v_add_f64 v[38:39], v[28:29], v[0:1]
	v_add_f64 v[24:25], v[22:23], v[42:43]
	;; [unrolled: 1-line block ×8, first 2 shown]
	v_lshrrev_b32_e32 v16, 2, v206
	v_mul_u32_u24_e32 v16, 52, v16
	v_or_b32_e32 v16, v16, v207
	v_lshl_add_u32 v16, v16, 4, 0
	v_add_f64 v[134:135], v[188:189], v[172:173]
	v_add_f64 v[132:133], v[186:187], v[174:175]
	;; [unrolled: 1-line block ×4, first 2 shown]
	ds_write_b128 v16, v[22:25]
	ds_write_b128 v16, v[18:21] offset:64
	ds_write_b128 v16, v[0:3] offset:128
	ds_write_b128 v16, v[128:131] offset:192
	ds_write_b128 v16, v[120:123] offset:256
	ds_write_b128 v16, v[112:115] offset:320
	ds_write_b128 v16, v[12:15] offset:384
	ds_write_b128 v16, v[4:7] offset:448
	ds_write_b128 v16, v[8:11] offset:512
	ds_write_b128 v16, v[116:119] offset:576
	ds_write_b128 v16, v[124:127] offset:640
	ds_write_b128 v16, v[132:135] offset:704
	ds_write_b128 v16, v[26:29] offset:768
.LBB0_23:
	s_or_b64 exec, exec, s[46:47]
	s_movk_i32 s4, 0x4f
	v_mul_lo_u16_sdwa v3, v202, s4 dst_sel:DWORD dst_unused:UNUSED_PAD src0_sel:BYTE_0 src1_sel:DWORD
	v_lshrrev_b16_e32 v3, 12, v3
	v_mul_lo_u16_e32 v3, 52, v3
	v_sub_u16_e32 v3, v202, v3
	v_mov_b32_e32 v4, 4
	v_lshlrev_b32_sdwa v151, v4, v3 dst_sel:DWORD dst_unused:UNUSED_PAD src0_sel:DWORD src1_sel:BYTE_0
	v_mul_lo_u16_sdwa v3, v200, s4 dst_sel:DWORD dst_unused:UNUSED_PAD src0_sel:BYTE_0 src1_sel:DWORD
	v_lshrrev_b16_e32 v3, 12, v3
	v_mul_lo_u16_e32 v3, 52, v3
	s_movk_i32 s4, 0x4ec5
	v_sub_u16_e32 v3, v200, v3
	v_mul_u32_u24_sdwa v6, v199, s4 dst_sel:DWORD dst_unused:UNUSED_PAD src0_sel:WORD_0 src1_sel:DWORD
	v_lshlrev_b32_sdwa v168, v4, v3 dst_sel:DWORD dst_unused:UNUSED_PAD src0_sel:DWORD src1_sel:BYTE_0
	v_lshrrev_b32_e32 v3, 20, v6
	v_mul_lo_u16_e32 v3, 52, v3
	v_sub_u16_e32 v3, v199, v3
	v_mul_u32_u24_sdwa v5, v198, s4 dst_sel:DWORD dst_unused:UNUSED_PAD src0_sel:WORD_0 src1_sel:DWORD
	v_lshlrev_b32_e32 v169, 4, v3
	v_lshrrev_b32_e32 v3, 20, v5
	v_mul_lo_u16_e32 v3, 52, v3
	v_sub_u16_e32 v3, v198, v3
	v_mul_u32_u24_sdwa v4, v197, s4 dst_sel:DWORD dst_unused:UNUSED_PAD src0_sel:WORD_0 src1_sel:DWORD
	v_mov_b32_e32 v2, s13
	v_add_co_u32_e32 v0, vcc, s12, v161
	v_lshlrev_b32_e32 v170, 4, v3
	v_lshrrev_b32_e32 v3, 20, v4
	v_addc_co_u32_e32 v1, vcc, v2, v162, vcc
	v_mul_lo_u16_e32 v3, 52, v3
	s_waitcnt lgkmcnt(0)
	; wave barrier
	s_waitcnt lgkmcnt(0)
	global_load_dwordx4 v[7:10], v[0:1], off offset:800
	global_load_dwordx4 v[11:14], v151, s[12:13] offset:800
	v_sub_u16_e32 v3, v197, v3
	v_lshlrev_b32_e32 v171, 4, v3
	v_mul_u32_u24_sdwa v3, v155, s4 dst_sel:DWORD dst_unused:UNUSED_PAD src0_sel:WORD_0 src1_sel:DWORD
	v_lshrrev_b32_e32 v31, 20, v3
	global_load_dwordx4 v[15:18], v168, s[12:13] offset:800
	global_load_dwordx4 v[19:22], v169, s[12:13] offset:800
	v_mul_lo_u16_e32 v31, 52, v31
	v_sub_u16_e32 v31, v155, v31
	v_lshlrev_b32_e32 v172, 4, v31
	v_mul_u32_u24_sdwa v31, v201, s4 dst_sel:DWORD dst_unused:UNUSED_PAD src0_sel:WORD_0 src1_sel:DWORD
	v_lshrrev_b32_e32 v31, 20, v31
	v_mul_lo_u16_e32 v31, 52, v31
	v_sub_u16_e32 v31, v201, v31
	v_mul_u32_u24_sdwa v39, v204, s4 dst_sel:DWORD dst_unused:UNUSED_PAD src0_sel:WORD_0 src1_sel:DWORD
	global_load_dwordx4 v[23:26], v170, s[12:13] offset:800
	global_load_dwordx4 v[27:30], v171, s[12:13] offset:800
	v_lshlrev_b32_e32 v173, 4, v31
	global_load_dwordx4 v[31:34], v172, s[12:13] offset:800
	global_load_dwordx4 v[35:38], v173, s[12:13] offset:800
	v_lshrrev_b32_e32 v39, 20, v39
	v_mul_lo_u16_e32 v39, 52, v39
	v_sub_u16_e32 v39, v204, v39
	v_mul_u32_u24_sdwa v47, v203, s4 dst_sel:DWORD dst_unused:UNUSED_PAD src0_sel:WORD_0 src1_sel:DWORD
	v_lshlrev_b32_e32 v174, 4, v39
	v_mul_u32_u24_sdwa v39, v205, s4 dst_sel:DWORD dst_unused:UNUSED_PAD src0_sel:WORD_0 src1_sel:DWORD
	v_lshrrev_b32_e32 v47, 20, v47
	v_lshrrev_b32_e32 v39, 20, v39
	v_mul_lo_u16_e32 v47, 52, v47
	v_mul_lo_u16_e32 v39, 52, v39
	v_sub_u16_e32 v47, v203, v47
	v_sub_u16_e32 v39, v205, v39
	v_lshlrev_b32_e32 v176, 4, v47
	v_lshlrev_b32_e32 v175, 4, v39
	global_load_dwordx4 v[39:42], v174, s[12:13] offset:800
	global_load_dwordx4 v[43:46], v175, s[12:13] offset:800
	;; [unrolled: 1-line block ×3, first 2 shown]
	ds_read_b128 v[51:54], v196
	ds_read_b128 v[55:58], v196 offset:832
	ds_read_b128 v[59:62], v196 offset:9984
	;; [unrolled: 1-line block ×23, first 2 shown]
	s_waitcnt lgkmcnt(0)
	; wave barrier
	s_waitcnt lgkmcnt(0)
	v_lshrrev_b32_e32 v6, 21, v6
	v_mul_lo_u16_e32 v6, 0x68, v6
	v_lshrrev_b32_e32 v5, 21, v5
	v_sub_u16_e32 v6, v199, v6
	v_mul_lo_u16_e32 v5, 0x68, v5
	v_sub_u16_e32 v5, v198, v5
	v_lshrrev_b32_e32 v4, 21, v4
	v_lshrrev_b32_e32 v3, 21, v3
	v_mul_lo_u16_e32 v4, 0x68, v4
	v_mul_lo_u16_e32 v3, 0x68, v3
	v_sub_u16_e32 v4, v197, v4
	v_sub_u16_e32 v3, v155, v3
	s_mov_b32 s4, 0xe8584caa
	s_mov_b32 s5, 0xbfebb67a
	;; [unrolled: 1-line block ×4, first 2 shown]
	s_waitcnt vmcnt(10)
	v_mul_f64 v[147:148], v[61:62], v[9:10]
	v_mul_f64 v[149:150], v[59:60], v[9:10]
	;; [unrolled: 1-line block ×4, first 2 shown]
	s_waitcnt vmcnt(9)
	v_mul_f64 v[164:165], v[77:78], v[13:14]
	v_mul_f64 v[13:14], v[75:76], v[13:14]
	s_waitcnt vmcnt(8)
	v_mul_f64 v[166:167], v[81:82], v[17:18]
	v_mul_f64 v[17:18], v[79:80], v[17:18]
	v_fma_f64 v[59:60], v[59:60], v[7:8], v[147:148]
	v_fma_f64 v[61:62], v[61:62], v[7:8], -v[149:150]
	v_fma_f64 v[63:64], v[63:64], v[7:8], v[161:162]
	v_fma_f64 v[65:66], v[65:66], v[7:8], -v[9:10]
	s_waitcnt vmcnt(7)
	v_mul_f64 v[7:8], v[93:94], v[21:22]
	v_mul_f64 v[9:10], v[91:92], v[21:22]
	v_fma_f64 v[75:76], v[75:76], v[11:12], v[164:165]
	v_fma_f64 v[77:78], v[77:78], v[11:12], -v[13:14]
	s_waitcnt vmcnt(4)
	v_mul_f64 v[21:22], v[113:114], v[33:34]
	v_mul_f64 v[11:12], v[97:98], v[25:26]
	;; [unrolled: 1-line block ×3, first 2 shown]
	v_fma_f64 v[79:80], v[79:80], v[15:16], v[166:167]
	v_fma_f64 v[81:82], v[81:82], v[15:16], -v[17:18]
	v_mul_f64 v[15:16], v[109:110], v[29:30]
	v_mul_f64 v[17:18], v[107:108], v[29:30]
	v_mul_f64 v[25:26], v[111:112], v[33:34]
	v_fma_f64 v[91:92], v[91:92], v[19:20], v[7:8]
	v_fma_f64 v[93:94], v[93:94], v[19:20], -v[9:10]
	s_waitcnt vmcnt(3)
	v_mul_f64 v[7:8], v[125:126], v[37:38]
	v_mul_f64 v[9:10], v[123:124], v[37:38]
	v_fma_f64 v[111:112], v[111:112], v[31:32], v[21:22]
	v_fma_f64 v[95:96], v[95:96], v[23:24], v[11:12]
	v_fma_f64 v[97:98], v[97:98], v[23:24], -v[13:14]
	s_waitcnt vmcnt(2)
	v_mul_f64 v[11:12], v[129:130], v[41:42]
	v_mul_f64 v[13:14], v[127:128], v[41:42]
	s_waitcnt vmcnt(0)
	v_mul_f64 v[19:20], v[145:146], v[49:50]
	v_mul_f64 v[21:22], v[143:144], v[49:50]
	v_fma_f64 v[107:108], v[107:108], v[27:28], v[15:16]
	v_fma_f64 v[109:110], v[109:110], v[27:28], -v[17:18]
	v_mul_f64 v[15:16], v[141:142], v[45:46]
	v_mul_f64 v[17:18], v[139:140], v[45:46]
	v_fma_f64 v[113:114], v[113:114], v[31:32], -v[25:26]
	v_fma_f64 v[123:124], v[123:124], v[35:36], v[7:8]
	v_fma_f64 v[125:126], v[125:126], v[35:36], -v[9:10]
	v_add_f64 v[7:8], v[51:52], -v[59:60]
	v_add_f64 v[9:10], v[53:54], -v[61:62]
	v_fma_f64 v[143:144], v[143:144], v[47:48], v[19:20]
	v_fma_f64 v[145:146], v[145:146], v[47:48], -v[21:22]
	v_add_f64 v[19:20], v[71:72], -v[79:80]
	v_add_f64 v[21:22], v[73:74], -v[81:82]
	v_fma_f64 v[127:128], v[127:128], v[39:40], v[11:12]
	v_fma_f64 v[129:130], v[129:130], v[39:40], -v[13:14]
	v_fma_f64 v[139:140], v[139:140], v[43:44], v[15:16]
	v_fma_f64 v[141:142], v[141:142], v[43:44], -v[17:18]
	v_add_f64 v[15:16], v[67:68], -v[75:76]
	v_add_f64 v[17:18], v[69:70], -v[77:78]
	;; [unrolled: 1-line block ×10, first 2 shown]
	v_fma_f64 v[23:24], v[51:52], 2.0, -v[7:8]
	v_fma_f64 v[25:26], v[53:54], 2.0, -v[9:10]
	v_add_f64 v[51:52], v[103:104], -v[111:112]
	v_add_f64 v[53:54], v[105:106], -v[113:114]
	v_fma_f64 v[35:36], v[71:72], 2.0, -v[19:20]
	v_fma_f64 v[37:38], v[73:74], 2.0, -v[21:22]
	v_add_f64 v[71:72], v[115:116], -v[123:124]
	v_add_f64 v[73:74], v[117:118], -v[125:126]
	;; [unrolled: 1-line block ×4, first 2 shown]
	v_fma_f64 v[31:32], v[67:68], 2.0, -v[15:16]
	v_fma_f64 v[33:34], v[69:70], 2.0, -v[17:18]
	v_add_f64 v[79:80], v[131:132], -v[139:140]
	v_add_f64 v[81:82], v[133:134], -v[141:142]
	v_fma_f64 v[27:28], v[55:56], 2.0, -v[11:12]
	v_fma_f64 v[29:30], v[57:58], 2.0, -v[13:14]
	;; [unrolled: 1-line block ×4, first 2 shown]
	v_add_f64 v[83:84], v[135:136], -v[143:144]
	v_add_f64 v[85:86], v[137:138], -v[145:146]
	v_fma_f64 v[59:60], v[87:88], 2.0, -v[43:44]
	v_fma_f64 v[61:62], v[89:90], 2.0, -v[45:46]
	v_fma_f64 v[63:64], v[99:100], 2.0, -v[47:48]
	v_fma_f64 v[65:66], v[101:102], 2.0, -v[49:50]
	v_fma_f64 v[67:68], v[103:104], 2.0, -v[51:52]
	v_fma_f64 v[69:70], v[105:106], 2.0, -v[53:54]
	v_fma_f64 v[87:88], v[115:116], 2.0, -v[71:72]
	v_fma_f64 v[89:90], v[117:118], 2.0, -v[73:74]
	v_fma_f64 v[91:92], v[119:120], 2.0, -v[75:76]
	v_fma_f64 v[93:94], v[121:122], 2.0, -v[77:78]
	ds_write_b128 v196, v[23:26]
	ds_write_b128 v196, v[7:10] offset:832
	ds_write_b128 v196, v[27:30] offset:1664
	;; [unrolled: 1-line block ×3, first 2 shown]
	v_add_u32_e32 v7, 0, v151
	v_fma_f64 v[95:96], v[131:132], 2.0, -v[79:80]
	v_fma_f64 v[97:98], v[133:134], 2.0, -v[81:82]
	ds_write_b128 v7, v[31:34] offset:3328
	ds_write_b128 v7, v[15:18] offset:4160
	v_add_u32_e32 v7, 0, v168
	v_fma_f64 v[99:100], v[135:136], 2.0, -v[83:84]
	v_fma_f64 v[101:102], v[137:138], 2.0, -v[85:86]
	ds_write_b128 v7, v[35:38] offset:4992
	ds_write_b128 v7, v[19:22] offset:5824
	v_add_u32_e32 v7, 0, v169
	ds_write_b128 v7, v[55:58] offset:6656
	ds_write_b128 v7, v[39:42] offset:7488
	v_add_u32_e32 v7, 0, v170
	;; [unrolled: 3-line block ×8, first 2 shown]
	v_mov_b32_e32 v161, 0
	ds_write_b128 v7, v[99:102] offset:18304
	ds_write_b128 v7, v[83:86] offset:19136
	v_lshlrev_b64 v[7:8], 4, v[160:161]
	s_waitcnt lgkmcnt(0)
	v_add_co_u32_e32 v11, vcc, s12, v7
	v_addc_co_u32_e32 v12, vcc, v2, v8, vcc
	; wave barrier
	global_load_dwordx4 v[7:10], v[11:12], off offset:1632
	s_nop 0
	global_load_dwordx4 v[11:14], v[11:12], off offset:1648
	v_mov_b32_e32 v164, v161
	v_lshlrev_b64 v[15:16], 4, v[163:164]
	v_lshlrev_b32_e32 v31, 5, v6
	v_add_co_u32_e32 v23, vcc, s12, v15
	v_addc_co_u32_e32 v24, vcc, v2, v16, vcc
	global_load_dwordx4 v[15:18], v[23:24], off offset:1632
	global_load_dwordx4 v[19:22], v[23:24], off offset:1648
	s_nop 0
	global_load_dwordx4 v[23:26], v31, s[12:13] offset:1632
	global_load_dwordx4 v[27:30], v31, s[12:13] offset:1648
	v_lshlrev_b32_e32 v39, 5, v5
	global_load_dwordx4 v[31:34], v39, s[12:13] offset:1648
	global_load_dwordx4 v[35:38], v39, s[12:13] offset:1632
	v_lshlrev_b32_e32 v47, 5, v4
	v_lshlrev_b32_e32 v55, 5, v3
	global_load_dwordx4 v[39:42], v47, s[12:13] offset:1632
	global_load_dwordx4 v[43:46], v47, s[12:13] offset:1648
	s_nop 0
	global_load_dwordx4 v[47:50], v55, s[12:13] offset:1632
	global_load_dwordx4 v[51:54], v55, s[12:13] offset:1648
	ds_read_b128 v[55:58], v196
	ds_read_b128 v[59:62], v196 offset:832
	ds_read_b128 v[63:66], v196 offset:6656
	;; [unrolled: 1-line block ×23, first 2 shown]
	v_lshl_add_u32 v6, v6, 4, 0
	v_lshl_add_u32 v5, v5, 4, 0
	;; [unrolled: 1-line block ×4, first 2 shown]
	s_waitcnt lgkmcnt(0)
	; wave barrier
	s_waitcnt vmcnt(11) lgkmcnt(0)
	v_mul_f64 v[162:163], v[65:66], v[9:10]
	v_mul_f64 v[164:165], v[63:64], v[9:10]
	;; [unrolled: 1-line block ×4, first 2 shown]
	s_waitcnt vmcnt(10)
	v_mul_f64 v[166:167], v[73:74], v[13:14]
	v_fma_f64 v[63:64], v[63:64], v[7:8], v[162:163]
	v_mul_f64 v[162:163], v[71:72], v[13:14]
	v_fma_f64 v[65:66], v[65:66], v[7:8], -v[164:165]
	s_waitcnt vmcnt(9)
	v_mul_f64 v[164:165], v[69:70], v[17:18]
	v_mul_f64 v[168:169], v[67:68], v[17:18]
	v_fma_f64 v[87:88], v[87:88], v[7:8], v[172:173]
	v_fma_f64 v[89:90], v[89:90], v[7:8], -v[9:10]
	v_mul_f64 v[7:8], v[93:94], v[17:18]
	v_mul_f64 v[9:10], v[91:92], v[17:18]
	v_fma_f64 v[73:74], v[73:74], v[11:12], -v[162:163]
	v_mul_f64 v[162:163], v[97:98], v[13:14]
	v_mul_f64 v[13:14], v[95:96], v[13:14]
	v_fma_f64 v[71:72], v[71:72], v[11:12], v[166:167]
	s_waitcnt vmcnt(8)
	v_mul_f64 v[166:167], v[77:78], v[21:22]
	v_fma_f64 v[67:68], v[67:68], v[15:16], v[164:165]
	v_fma_f64 v[69:70], v[69:70], v[15:16], -v[168:169]
	v_mul_f64 v[17:18], v[101:102], v[21:22]
	v_fma_f64 v[91:92], v[91:92], v[15:16], v[7:8]
	v_fma_f64 v[95:96], v[95:96], v[11:12], v[162:163]
	v_fma_f64 v[97:98], v[97:98], v[11:12], -v[13:14]
	s_waitcnt vmcnt(7)
	v_mul_f64 v[11:12], v[111:112], v[25:26]
	v_fma_f64 v[93:94], v[93:94], v[15:16], -v[9:10]
	s_waitcnt vmcnt(6)
	v_mul_f64 v[7:8], v[121:122], v[29:30]
	v_mul_f64 v[9:10], v[119:120], v[29:30]
	s_waitcnt vmcnt(5)
	v_mul_f64 v[15:16], v[123:124], v[33:34]
	v_mul_f64 v[170:171], v[75:76], v[21:22]
	v_fma_f64 v[75:76], v[75:76], v[19:20], v[166:167]
	v_mul_f64 v[21:22], v[99:100], v[21:22]
	v_mul_f64 v[162:163], v[113:114], v[25:26]
	v_fma_f64 v[99:100], v[99:100], v[19:20], v[17:18]
	v_fma_f64 v[113:114], v[113:114], v[23:24], -v[11:12]
	s_waitcnt vmcnt(4)
	v_mul_f64 v[11:12], v[117:118], v[37:38]
	v_mul_f64 v[13:14], v[115:116], v[37:38]
	v_fma_f64 v[119:120], v[119:120], v[27:28], v[7:8]
	v_mul_f64 v[7:8], v[125:126], v[33:34]
	s_waitcnt vmcnt(3)
	v_mul_f64 v[17:18], v[137:138], v[41:42]
	v_fma_f64 v[121:122], v[121:122], v[27:28], -v[9:10]
	v_mul_f64 v[9:10], v[135:136], v[41:42]
	v_fma_f64 v[125:126], v[125:126], v[31:32], -v[15:16]
	s_waitcnt vmcnt(0)
	v_mul_f64 v[15:16], v[149:150], v[53:54]
	v_fma_f64 v[77:78], v[77:78], v[19:20], -v[170:171]
	v_fma_f64 v[101:102], v[101:102], v[19:20], -v[21:22]
	v_fma_f64 v[115:116], v[115:116], v[35:36], v[11:12]
	v_fma_f64 v[117:118], v[117:118], v[35:36], -v[13:14]
	v_mul_f64 v[11:12], v[145:146], v[45:46]
	v_fma_f64 v[123:124], v[123:124], v[31:32], v[7:8]
	v_fma_f64 v[135:136], v[135:136], v[39:40], v[17:18]
	v_mul_f64 v[7:8], v[143:144], v[45:46]
	v_fma_f64 v[137:138], v[137:138], v[39:40], -v[9:10]
	v_mul_f64 v[9:10], v[141:142], v[49:50]
	v_add_f64 v[13:14], v[63:64], v[71:72]
	v_mul_f64 v[17:18], v[147:148], v[53:54]
	v_fma_f64 v[147:148], v[147:148], v[51:52], v[15:16]
	v_add_f64 v[15:16], v[65:66], v[73:74]
	v_add_f64 v[19:20], v[67:68], v[75:76]
	;; [unrolled: 1-line block ×3, first 2 shown]
	v_fma_f64 v[111:112], v[111:112], v[23:24], v[162:163]
	v_fma_f64 v[143:144], v[143:144], v[43:44], v[11:12]
	v_mul_f64 v[11:12], v[139:140], v[49:50]
	v_fma_f64 v[145:146], v[145:146], v[43:44], -v[7:8]
	v_fma_f64 v[139:140], v[139:140], v[47:48], v[9:10]
	v_fma_f64 v[9:10], v[13:14], -0.5, v[55:56]
	v_add_f64 v[13:14], v[65:66], -v[73:74]
	v_fma_f64 v[149:150], v[149:150], v[51:52], -v[17:18]
	v_add_f64 v[17:18], v[57:58], v[65:66]
	v_fma_f64 v[21:22], v[15:16], -0.5, v[57:58]
	v_add_f64 v[23:24], v[63:64], -v[71:72]
	v_add_f64 v[27:28], v[69:70], v[77:78]
	v_fma_f64 v[29:30], v[19:20], -0.5, v[59:60]
	v_add_f64 v[19:20], v[25:26], v[75:76]
	v_add_f64 v[25:26], v[87:88], v[95:96]
	;; [unrolled: 1-line block ×7, first 2 shown]
	v_fma_f64 v[141:142], v[141:142], v[47:48], -v[11:12]
	v_fma_f64 v[11:12], v[13:14], s[4:5], v[9:10]
	v_fma_f64 v[15:16], v[13:14], s[6:7], v[9:10]
	v_add_f64 v[9:10], v[17:18], v[73:74]
	v_add_f64 v[31:32], v[69:70], -v[77:78]
	v_fma_f64 v[13:14], v[23:24], s[6:7], v[21:22]
	v_fma_f64 v[17:18], v[23:24], s[4:5], v[21:22]
	v_add_f64 v[21:22], v[61:62], v[69:70]
	v_fma_f64 v[33:34], v[27:28], -0.5, v[61:62]
	v_add_f64 v[35:36], v[67:68], -v[75:76]
	v_fma_f64 v[39:40], v[25:26], -0.5, v[79:80]
	v_add_f64 v[41:42], v[89:90], -v[97:98]
	;; [unrolled: 2-line block ×4, first 2 shown]
	v_add_f64 v[43:44], v[49:50], v[99:100]
	v_add_f64 v[49:50], v[111:112], v[119:120]
	v_fma_f64 v[57:58], v[51:52], -0.5, v[85:86]
	v_add_f64 v[59:60], v[91:92], -v[99:100]
	v_add_f64 v[61:62], v[113:114], v[121:122]
	v_add_f64 v[67:68], v[105:106], v[113:114]
	;; [unrolled: 1-line block ×3, first 2 shown]
	v_fma_f64 v[23:24], v[31:32], s[4:5], v[29:30]
	v_fma_f64 v[27:28], v[31:32], s[6:7], v[29:30]
	;; [unrolled: 1-line block ×10, first 2 shown]
	v_fma_f64 v[63:64], v[49:50], -0.5, v[103:104]
	v_add_f64 v[65:66], v[113:114], -v[121:122]
	v_fma_f64 v[49:50], v[59:60], s[6:7], v[57:58]
	v_fma_f64 v[53:54], v[59:60], s[4:5], v[57:58]
	v_add_f64 v[69:70], v[115:116], v[123:124]
	v_fma_f64 v[71:72], v[61:62], -0.5, v[105:106]
	v_add_f64 v[73:74], v[111:112], -v[119:120]
	v_add_f64 v[57:58], v[67:68], v[121:122]
	v_add_f64 v[67:68], v[117:118], v[125:126]
	;; [unrolled: 1-line block ×7, first 2 shown]
	v_fma_f64 v[59:60], v[65:66], s[4:5], v[63:64]
	v_fma_f64 v[63:64], v[65:66], s[6:7], v[63:64]
	v_add_f64 v[75:76], v[107:108], v[115:116]
	v_fma_f64 v[69:70], v[69:70], -0.5, v[107:108]
	v_add_f64 v[77:78], v[117:118], -v[125:126]
	v_fma_f64 v[61:62], v[73:74], s[6:7], v[71:72]
	v_fma_f64 v[65:66], v[73:74], s[4:5], v[71:72]
	v_add_f64 v[73:74], v[109:110], v[117:118]
	v_fma_f64 v[81:82], v[67:68], -0.5, v[109:110]
	v_add_f64 v[83:84], v[115:116], -v[123:124]
	v_add_f64 v[85:86], v[127:128], v[135:136]
	v_fma_f64 v[87:88], v[79:80], -0.5, v[127:128]
	v_add_f64 v[89:90], v[137:138], -v[145:146]
	v_add_f64 v[91:92], v[137:138], v[145:146]
	v_add_f64 v[67:68], v[75:76], v[123:124]
	v_fma_f64 v[71:72], v[77:78], s[4:5], v[69:70]
	v_fma_f64 v[75:76], v[77:78], s[6:7], v[69:70]
	v_add_f64 v[69:70], v[73:74], v[125:126]
	v_fma_f64 v[73:74], v[83:84], s[6:7], v[81:82]
	v_fma_f64 v[77:78], v[83:84], s[4:5], v[81:82]
	v_add_f64 v[79:80], v[85:86], v[143:144]
	v_add_f64 v[81:82], v[139:140], v[147:148]
	;; [unrolled: 1-line block ×6, first 2 shown]
	v_fma_f64 v[83:84], v[89:90], s[4:5], v[87:88]
	v_fma_f64 v[87:88], v[89:90], s[6:7], v[87:88]
	v_add_f64 v[89:90], v[129:130], v[137:138]
	v_fma_f64 v[91:92], v[91:92], -0.5, v[129:130]
	v_add_f64 v[93:94], v[135:136], -v[143:144]
	v_add_f64 v[95:96], v[131:132], v[139:140]
	v_add_f64 v[101:102], v[133:134], v[141:142]
	v_add_f64 v[33:34], v[33:34], v[97:98]
	v_fma_f64 v[97:98], v[81:82], -0.5, v[131:132]
	v_add_f64 v[99:100], v[141:142], -v[149:150]
	v_fma_f64 v[103:104], v[85:86], -0.5, v[133:134]
	v_add_f64 v[105:106], v[139:140], -v[147:148]
	v_add_f64 v[55:56], v[55:56], v[119:120]
	v_add_f64 v[81:82], v[89:90], v[145:146]
	v_fma_f64 v[85:86], v[93:94], s[6:7], v[91:92]
	v_fma_f64 v[89:90], v[93:94], s[4:5], v[91:92]
	v_add_f64 v[91:92], v[95:96], v[147:148]
	v_add_f64 v[93:94], v[101:102], v[149:150]
	v_fma_f64 v[95:96], v[99:100], s[4:5], v[97:98]
	v_fma_f64 v[99:100], v[99:100], s[6:7], v[97:98]
	;; [unrolled: 1-line block ×4, first 2 shown]
	s_movk_i32 s4, 0x1000
	ds_write_b128 v196, v[7:10]
	ds_write_b128 v196, v[11:14] offset:1664
	ds_write_b128 v196, v[15:18] offset:3328
	ds_write_b128 v196, v[19:22] offset:832
	ds_write_b128 v196, v[23:26] offset:2496
	ds_write_b128 v196, v[27:30] offset:4160
	ds_write_b128 v196, v[31:34] offset:4992
	ds_write_b128 v196, v[35:38] offset:6656
	ds_write_b128 v196, v[39:42] offset:8320
	ds_write_b128 v196, v[43:46] offset:5824
	ds_write_b128 v196, v[47:50] offset:7488
	ds_write_b128 v196, v[51:54] offset:9152
	ds_write_b128 v6, v[55:58] offset:9984
	ds_write_b128 v6, v[59:62] offset:11648
	ds_write_b128 v6, v[63:66] offset:13312
	ds_write_b128 v5, v[67:70] offset:9984
	ds_write_b128 v5, v[71:74] offset:11648
	ds_write_b128 v5, v[75:78] offset:13312
	ds_write_b128 v4, v[79:82] offset:14976
	ds_write_b128 v4, v[83:86] offset:16640
	ds_write_b128 v4, v[87:90] offset:18304
	ds_write_b128 v3, v[91:94] offset:14976
	ds_write_b128 v3, v[95:98] offset:16640
	ds_write_b128 v3, v[99:102] offset:18304
	v_add_co_u32_e32 v3, vcc, s4, v0
	v_addc_co_u32_e32 v4, vcc, 0, v1, vcc
	s_waitcnt lgkmcnt(0)
	; wave barrier
	s_waitcnt lgkmcnt(0)
	global_load_dwordx4 v[6:9], v[3:4], off offset:864
	v_add_co_u32_e32 v4, vcc, s12, v158
	v_addc_co_u32_e32 v5, vcc, v2, v159, vcc
	v_add_co_u32_e32 v2, vcc, s4, v4
	v_addc_co_u32_e32 v3, vcc, 0, v5, vcc
	global_load_dwordx4 v[10:13], v[2:3], off offset:1696
	global_load_dwordx4 v[14:17], v[2:3], off offset:2528
	global_load_dwordx4 v[18:21], v[2:3], off offset:3360
	s_movk_i32 s4, 0x2000
	v_add_co_u32_e32 v2, vcc, s4, v4
	v_addc_co_u32_e32 v3, vcc, 0, v5, vcc
	global_load_dwordx4 v[22:25], v[2:3], off offset:96
	global_load_dwordx4 v[26:29], v[2:3], off offset:928
	ds_read_b128 v[30:33], v196
	ds_read_b128 v[34:37], v196 offset:832
	ds_read_b128 v[38:41], v196 offset:9984
	ds_read_b128 v[42:45], v196 offset:10816
	ds_read_b128 v[46:49], v196 offset:1664
	ds_read_b128 v[50:53], v196 offset:2496
	ds_read_b128 v[54:57], v196 offset:11648
	ds_read_b128 v[58:61], v196 offset:12480
	ds_read_b128 v[62:65], v196 offset:3328
	ds_read_b128 v[66:69], v196 offset:4160
	ds_read_b128 v[70:73], v196 offset:13312
	ds_read_b128 v[74:77], v196 offset:14144
	ds_read_b128 v[78:81], v196 offset:4992
	ds_read_b128 v[82:85], v196 offset:5824
	ds_read_b128 v[86:89], v196 offset:14976
	ds_read_b128 v[90:93], v196 offset:15808
	ds_read_b128 v[94:97], v196 offset:6656
	ds_read_b128 v[98:101], v196 offset:7488
	ds_read_b128 v[102:105], v196 offset:16640
	ds_read_b128 v[106:109], v196 offset:17472
	ds_read_b128 v[110:113], v196 offset:8320
	ds_read_b128 v[114:117], v196 offset:9152
	ds_read_b128 v[118:121], v196 offset:18304
	ds_read_b128 v[122:125], v196 offset:19136
	v_add_co_u32_e32 v0, vcc, s4, v0
	v_addc_co_u32_e32 v1, vcc, 0, v1, vcc
	s_waitcnt lgkmcnt(0)
	; wave barrier
	s_waitcnt lgkmcnt(0)
	s_movk_i32 s4, 0x3000
	s_waitcnt vmcnt(5)
	v_mul_f64 v[126:127], v[40:41], v[8:9]
	v_mul_f64 v[128:129], v[38:39], v[8:9]
	s_waitcnt vmcnt(4)
	v_mul_f64 v[130:131], v[44:45], v[12:13]
	s_waitcnt vmcnt(3)
	v_mul_f64 v[134:135], v[56:57], v[16:17]
	v_mul_f64 v[136:137], v[54:55], v[16:17]
	;; [unrolled: 1-line block ×3, first 2 shown]
	s_waitcnt vmcnt(2)
	v_mul_f64 v[138:139], v[60:61], v[20:21]
	v_mul_f64 v[140:141], v[58:59], v[20:21]
	v_fma_f64 v[38:39], v[38:39], v[6:7], v[126:127]
	v_fma_f64 v[40:41], v[40:41], v[6:7], -v[128:129]
	v_fma_f64 v[42:43], v[42:43], v[10:11], v[130:131]
	v_fma_f64 v[54:55], v[54:55], v[14:15], v[134:135]
	v_fma_f64 v[56:57], v[56:57], v[14:15], -v[136:137]
	v_mul_f64 v[134:135], v[88:89], v[8:9]
	v_mul_f64 v[8:9], v[86:87], v[8:9]
	;; [unrolled: 1-line block ×4, first 2 shown]
	v_fma_f64 v[44:45], v[44:45], v[10:11], -v[132:133]
	v_fma_f64 v[58:59], v[58:59], v[18:19], v[138:139]
	v_fma_f64 v[60:61], v[60:61], v[18:19], -v[140:141]
	s_waitcnt vmcnt(1)
	v_mul_f64 v[126:127], v[72:73], v[24:25]
	v_mul_f64 v[128:129], v[70:71], v[24:25]
	s_waitcnt vmcnt(0)
	v_mul_f64 v[130:131], v[76:77], v[28:29]
	v_mul_f64 v[132:133], v[74:75], v[28:29]
	v_fma_f64 v[86:87], v[86:87], v[6:7], v[134:135]
	v_fma_f64 v[88:89], v[88:89], v[6:7], -v[8:9]
	v_fma_f64 v[90:91], v[90:91], v[10:11], v[136:137]
	v_fma_f64 v[92:93], v[92:93], v[10:11], -v[12:13]
	v_mul_f64 v[6:7], v[104:105], v[16:17]
	v_mul_f64 v[8:9], v[102:103], v[16:17]
	;; [unrolled: 1-line block ×6, first 2 shown]
	v_fma_f64 v[70:71], v[70:71], v[22:23], v[126:127]
	v_fma_f64 v[72:73], v[72:73], v[22:23], -v[128:129]
	v_fma_f64 v[74:75], v[74:75], v[26:27], v[130:131]
	v_fma_f64 v[76:77], v[76:77], v[26:27], -v[132:133]
	v_mul_f64 v[24:25], v[124:125], v[28:29]
	v_mul_f64 v[28:29], v[122:123], v[28:29]
	v_fma_f64 v[102:103], v[102:103], v[14:15], v[6:7]
	v_fma_f64 v[104:105], v[104:105], v[14:15], -v[8:9]
	v_fma_f64 v[106:107], v[106:107], v[18:19], v[10:11]
	v_fma_f64 v[108:109], v[108:109], v[18:19], -v[12:13]
	;; [unrolled: 2-line block ×3, first 2 shown]
	v_add_f64 v[6:7], v[30:31], -v[38:39]
	v_add_f64 v[8:9], v[32:33], -v[40:41]
	;; [unrolled: 1-line block ×8, first 2 shown]
	v_fma_f64 v[122:123], v[122:123], v[26:27], v[24:25]
	v_fma_f64 v[124:125], v[124:125], v[26:27], -v[28:29]
	v_fma_f64 v[22:23], v[30:31], 2.0, -v[6:7]
	v_fma_f64 v[24:25], v[32:33], 2.0, -v[8:9]
	;; [unrolled: 1-line block ×8, first 2 shown]
	v_add_f64 v[38:39], v[62:63], -v[70:71]
	v_add_f64 v[40:41], v[64:65], -v[72:73]
	;; [unrolled: 1-line block ×8, first 2 shown]
	v_fma_f64 v[54:55], v[62:63], 2.0, -v[38:39]
	v_fma_f64 v[56:57], v[64:65], 2.0, -v[40:41]
	;; [unrolled: 1-line block ×8, first 2 shown]
	v_add_f64 v[70:71], v[94:95], -v[102:103]
	v_add_f64 v[72:73], v[96:97], -v[104:105]
	;; [unrolled: 1-line block ×8, first 2 shown]
	v_fma_f64 v[86:87], v[94:95], 2.0, -v[70:71]
	v_fma_f64 v[88:89], v[96:97], 2.0, -v[72:73]
	;; [unrolled: 1-line block ×8, first 2 shown]
	ds_write_b128 v196, v[22:25]
	ds_write_b128 v196, v[6:9] offset:4992
	ds_write_b128 v196, v[26:29] offset:832
	;; [unrolled: 1-line block ×23, first 2 shown]
	s_waitcnt lgkmcnt(0)
	; wave barrier
	s_waitcnt lgkmcnt(0)
	global_load_dwordx4 v[6:9], v[0:1], off offset:1760
	global_load_dwordx4 v[10:13], v[2:3], off offset:2592
	;; [unrolled: 1-line block ×3, first 2 shown]
	v_add_co_u32_e32 v34, vcc, s4, v4
	v_addc_co_u32_e32 v35, vcc, 0, v5, vcc
	global_load_dwordx4 v[0:3], v[34:35], off offset:160
	global_load_dwordx4 v[18:21], v[34:35], off offset:992
	;; [unrolled: 1-line block ×5, first 2 shown]
	s_movk_i32 s4, 0x4000
	v_add_co_u32_e32 v4, vcc, s4, v4
	v_addc_co_u32_e32 v5, vcc, 0, v5, vcc
	global_load_dwordx4 v[34:37], v[4:5], off offset:224
	global_load_dwordx4 v[38:41], v[4:5], off offset:1056
	;; [unrolled: 1-line block ×4, first 2 shown]
	ds_read_b128 v[50:53], v196
	ds_read_b128 v[54:57], v196 offset:832
	ds_read_b128 v[58:61], v196 offset:9984
	;; [unrolled: 1-line block ×23, first 2 shown]
	s_waitcnt lgkmcnt(0)
	; wave barrier
	s_waitcnt vmcnt(11) lgkmcnt(0)
	v_mul_f64 v[4:5], v[60:61], v[8:9]
	v_mul_f64 v[8:9], v[58:59], v[8:9]
	s_waitcnt vmcnt(10)
	v_mul_f64 v[146:147], v[64:65], v[12:13]
	v_mul_f64 v[12:13], v[62:63], v[12:13]
	s_waitcnt vmcnt(9)
	;; [unrolled: 3-line block ×3, first 2 shown]
	v_mul_f64 v[150:151], v[80:81], v[2:3]
	v_mul_f64 v[2:3], v[78:79], v[2:3]
	v_fma_f64 v[4:5], v[58:59], v[6:7], v[4:5]
	v_fma_f64 v[6:7], v[60:61], v[6:7], -v[8:9]
	v_fma_f64 v[8:9], v[62:63], v[10:11], v[146:147]
	v_fma_f64 v[10:11], v[64:65], v[10:11], -v[12:13]
	;; [unrolled: 2-line block ×4, first 2 shown]
	s_waitcnt vmcnt(7)
	v_mul_f64 v[0:1], v[92:93], v[20:21]
	v_mul_f64 v[2:3], v[90:91], v[20:21]
	s_waitcnt vmcnt(6)
	v_mul_f64 v[20:21], v[96:97], v[24:25]
	v_mul_f64 v[24:25], v[94:95], v[24:25]
	;; [unrolled: 3-line block ×4, first 2 shown]
	v_fma_f64 v[64:65], v[90:91], v[18:19], v[0:1]
	v_fma_f64 v[74:75], v[92:93], v[18:19], -v[2:3]
	v_fma_f64 v[76:77], v[94:95], v[22:23], v[20:21]
	v_fma_f64 v[78:79], v[96:97], v[22:23], -v[24:25]
	;; [unrolled: 2-line block ×3, first 2 shown]
	s_waitcnt vmcnt(3)
	v_mul_f64 v[0:1], v[124:125], v[36:37]
	v_mul_f64 v[2:3], v[122:123], v[36:37]
	s_waitcnt vmcnt(2)
	v_mul_f64 v[18:19], v[128:129], v[40:41]
	v_mul_f64 v[20:21], v[126:127], v[40:41]
	;; [unrolled: 3-line block ×4, first 2 shown]
	v_fma_f64 v[62:63], v[110:111], v[30:31], v[62:63]
	v_fma_f64 v[90:91], v[112:113], v[30:31], -v[32:33]
	v_fma_f64 v[92:93], v[122:123], v[34:35], v[0:1]
	v_fma_f64 v[94:95], v[124:125], v[34:35], -v[2:3]
	;; [unrolled: 2-line block ×5, first 2 shown]
	v_add_f64 v[0:1], v[50:51], -v[4:5]
	v_add_f64 v[2:3], v[52:53], -v[6:7]
	;; [unrolled: 1-line block ×8, first 2 shown]
	v_fma_f64 v[16:17], v[50:51], 2.0, -v[0:1]
	v_fma_f64 v[18:19], v[52:53], 2.0, -v[2:3]
	v_add_f64 v[32:33], v[82:83], -v[64:65]
	v_add_f64 v[34:35], v[84:85], -v[74:75]
	v_fma_f64 v[24:25], v[66:67], 2.0, -v[8:9]
	v_fma_f64 v[26:27], v[68:69], 2.0, -v[10:11]
	v_fma_f64 v[28:29], v[70:71], 2.0, -v[12:13]
	v_fma_f64 v[30:31], v[72:73], 2.0, -v[14:15]
	v_add_f64 v[36:37], v[86:87], -v[76:77]
	v_add_f64 v[38:39], v[88:89], -v[78:79]
	;; [unrolled: 1-line block ×14, first 2 shown]
	v_fma_f64 v[20:21], v[54:55], 2.0, -v[4:5]
	v_fma_f64 v[22:23], v[56:57], 2.0, -v[6:7]
	;; [unrolled: 1-line block ×18, first 2 shown]
	ds_write_b128 v196, v[16:19]
	ds_write_b128 v196, v[0:3] offset:9984
	ds_write_b128 v196, v[20:23] offset:832
	;; [unrolled: 1-line block ×23, first 2 shown]
	s_waitcnt lgkmcnt(0)
	; wave barrier
	s_waitcnt lgkmcnt(0)
	s_and_saveexec_b64 s[4:5], s[0:1]
	s_cbranch_execz .LBB0_25
; %bb.24:
	v_mul_lo_u32 v0, s3, v156
	v_mul_lo_u32 v1, s2, v157
	v_mad_u64_u32 v[4:5], s[0:1], s2, v156, 0
	v_mov_b32_e32 v6, s11
	v_lshl_add_u32 v10, v154, 4, 0
	v_add3_u32 v5, v5, v1, v0
	v_lshlrev_b64 v[4:5], 4, v[4:5]
	v_mov_b32_e32 v155, v161
	v_add_co_u32_e32 v7, vcc, s10, v4
	v_addc_co_u32_e32 v6, vcc, v6, v5, vcc
	v_lshlrev_b64 v[4:5], 4, v[152:153]
	ds_read_b128 v[0:3], v10
	v_add_co_u32_e32 v11, vcc, v7, v4
	v_addc_co_u32_e32 v12, vcc, v6, v5, vcc
	v_lshlrev_b64 v[4:5], 4, v[154:155]
	v_add_u32_e32 v160, 52, v154
	v_add_co_u32_e32 v8, vcc, v11, v4
	v_addc_co_u32_e32 v9, vcc, v12, v5, vcc
	ds_read_b128 v[4:7], v10 offset:832
	s_waitcnt lgkmcnt(1)
	global_store_dwordx4 v[8:9], v[0:3], off
	s_nop 0
	v_lshlrev_b64 v[0:1], 4, v[160:161]
	v_add_u32_e32 v160, 0x68, v154
	v_add_co_u32_e32 v0, vcc, v11, v0
	v_addc_co_u32_e32 v1, vcc, v12, v1, vcc
	s_waitcnt lgkmcnt(0)
	global_store_dwordx4 v[0:1], v[4:7], off
	ds_read_b128 v[0:3], v10 offset:1664
	v_lshlrev_b64 v[4:5], 4, v[160:161]
	v_add_u32_e32 v160, 0x9c, v154
	v_add_co_u32_e32 v8, vcc, v11, v4
	v_addc_co_u32_e32 v9, vcc, v12, v5, vcc
	ds_read_b128 v[4:7], v10 offset:2496
	s_waitcnt lgkmcnt(1)
	global_store_dwordx4 v[8:9], v[0:3], off
	s_nop 0
	v_lshlrev_b64 v[0:1], 4, v[160:161]
	v_add_u32_e32 v160, 0xd0, v154
	v_add_co_u32_e32 v0, vcc, v11, v0
	v_addc_co_u32_e32 v1, vcc, v12, v1, vcc
	s_waitcnt lgkmcnt(0)
	global_store_dwordx4 v[0:1], v[4:7], off
	ds_read_b128 v[0:3], v10 offset:3328
	;; [unrolled: 15-line block ×11, first 2 shown]
	v_lshlrev_b64 v[4:5], 4, v[160:161]
	v_add_u32_e32 v160, 0x4ac, v154
	v_add_co_u32_e32 v8, vcc, v11, v4
	v_addc_co_u32_e32 v9, vcc, v12, v5, vcc
	ds_read_b128 v[4:7], v10 offset:19136
	s_waitcnt lgkmcnt(1)
	global_store_dwordx4 v[8:9], v[0:3], off
	s_nop 0
	v_lshlrev_b64 v[0:1], 4, v[160:161]
	v_add_co_u32_e32 v0, vcc, v11, v0
	v_addc_co_u32_e32 v1, vcc, v12, v1, vcc
	s_waitcnt lgkmcnt(0)
	global_store_dwordx4 v[0:1], v[4:7], off
.LBB0_25:
	s_endpgm
	.section	.rodata,"a",@progbits
	.p2align	6, 0x0
	.amdhsa_kernel fft_rtc_back_len1248_factors_2_2_13_2_3_2_2_wgs_52_tpt_52_halfLds_dp_op_CI_CI_unitstride_sbrr_C2R_dirReg
		.amdhsa_group_segment_fixed_size 0
		.amdhsa_private_segment_fixed_size 0
		.amdhsa_kernarg_size 104
		.amdhsa_user_sgpr_count 6
		.amdhsa_user_sgpr_private_segment_buffer 1
		.amdhsa_user_sgpr_dispatch_ptr 0
		.amdhsa_user_sgpr_queue_ptr 0
		.amdhsa_user_sgpr_kernarg_segment_ptr 1
		.amdhsa_user_sgpr_dispatch_id 0
		.amdhsa_user_sgpr_flat_scratch_init 0
		.amdhsa_user_sgpr_private_segment_size 0
		.amdhsa_uses_dynamic_stack 0
		.amdhsa_system_sgpr_private_segment_wavefront_offset 0
		.amdhsa_system_sgpr_workgroup_id_x 1
		.amdhsa_system_sgpr_workgroup_id_y 0
		.amdhsa_system_sgpr_workgroup_id_z 0
		.amdhsa_system_sgpr_workgroup_info 0
		.amdhsa_system_vgpr_workitem_id 0
		.amdhsa_next_free_vgpr 254
		.amdhsa_next_free_sgpr 48
		.amdhsa_reserve_vcc 1
		.amdhsa_reserve_flat_scratch 0
		.amdhsa_float_round_mode_32 0
		.amdhsa_float_round_mode_16_64 0
		.amdhsa_float_denorm_mode_32 3
		.amdhsa_float_denorm_mode_16_64 3
		.amdhsa_dx10_clamp 1
		.amdhsa_ieee_mode 1
		.amdhsa_fp16_overflow 0
		.amdhsa_exception_fp_ieee_invalid_op 0
		.amdhsa_exception_fp_denorm_src 0
		.amdhsa_exception_fp_ieee_div_zero 0
		.amdhsa_exception_fp_ieee_overflow 0
		.amdhsa_exception_fp_ieee_underflow 0
		.amdhsa_exception_fp_ieee_inexact 0
		.amdhsa_exception_int_div_zero 0
	.end_amdhsa_kernel
	.text
.Lfunc_end0:
	.size	fft_rtc_back_len1248_factors_2_2_13_2_3_2_2_wgs_52_tpt_52_halfLds_dp_op_CI_CI_unitstride_sbrr_C2R_dirReg, .Lfunc_end0-fft_rtc_back_len1248_factors_2_2_13_2_3_2_2_wgs_52_tpt_52_halfLds_dp_op_CI_CI_unitstride_sbrr_C2R_dirReg
                                        ; -- End function
	.section	.AMDGPU.csdata,"",@progbits
; Kernel info:
; codeLenInByte = 22060
; NumSgprs: 52
; NumVgprs: 254
; ScratchSize: 0
; MemoryBound: 0
; FloatMode: 240
; IeeeMode: 1
; LDSByteSize: 0 bytes/workgroup (compile time only)
; SGPRBlocks: 6
; VGPRBlocks: 63
; NumSGPRsForWavesPerEU: 52
; NumVGPRsForWavesPerEU: 254
; Occupancy: 1
; WaveLimiterHint : 1
; COMPUTE_PGM_RSRC2:SCRATCH_EN: 0
; COMPUTE_PGM_RSRC2:USER_SGPR: 6
; COMPUTE_PGM_RSRC2:TRAP_HANDLER: 0
; COMPUTE_PGM_RSRC2:TGID_X_EN: 1
; COMPUTE_PGM_RSRC2:TGID_Y_EN: 0
; COMPUTE_PGM_RSRC2:TGID_Z_EN: 0
; COMPUTE_PGM_RSRC2:TIDIG_COMP_CNT: 0
	.type	__hip_cuid_d5572aec7ef822e6,@object ; @__hip_cuid_d5572aec7ef822e6
	.section	.bss,"aw",@nobits
	.globl	__hip_cuid_d5572aec7ef822e6
__hip_cuid_d5572aec7ef822e6:
	.byte	0                               ; 0x0
	.size	__hip_cuid_d5572aec7ef822e6, 1

	.ident	"AMD clang version 19.0.0git (https://github.com/RadeonOpenCompute/llvm-project roc-6.4.0 25133 c7fe45cf4b819c5991fe208aaa96edf142730f1d)"
	.section	".note.GNU-stack","",@progbits
	.addrsig
	.addrsig_sym __hip_cuid_d5572aec7ef822e6
	.amdgpu_metadata
---
amdhsa.kernels:
  - .args:
      - .actual_access:  read_only
        .address_space:  global
        .offset:         0
        .size:           8
        .value_kind:     global_buffer
      - .offset:         8
        .size:           8
        .value_kind:     by_value
      - .actual_access:  read_only
        .address_space:  global
        .offset:         16
        .size:           8
        .value_kind:     global_buffer
      - .actual_access:  read_only
        .address_space:  global
        .offset:         24
        .size:           8
        .value_kind:     global_buffer
      - .actual_access:  read_only
        .address_space:  global
        .offset:         32
        .size:           8
        .value_kind:     global_buffer
      - .offset:         40
        .size:           8
        .value_kind:     by_value
      - .actual_access:  read_only
        .address_space:  global
        .offset:         48
        .size:           8
        .value_kind:     global_buffer
      - .actual_access:  read_only
        .address_space:  global
        .offset:         56
        .size:           8
        .value_kind:     global_buffer
      - .offset:         64
        .size:           4
        .value_kind:     by_value
      - .actual_access:  read_only
        .address_space:  global
        .offset:         72
        .size:           8
        .value_kind:     global_buffer
      - .actual_access:  read_only
        .address_space:  global
        .offset:         80
        .size:           8
        .value_kind:     global_buffer
      - .actual_access:  read_only
        .address_space:  global
        .offset:         88
        .size:           8
        .value_kind:     global_buffer
      - .actual_access:  write_only
        .address_space:  global
        .offset:         96
        .size:           8
        .value_kind:     global_buffer
    .group_segment_fixed_size: 0
    .kernarg_segment_align: 8
    .kernarg_segment_size: 104
    .language:       OpenCL C
    .language_version:
      - 2
      - 0
    .max_flat_workgroup_size: 52
    .name:           fft_rtc_back_len1248_factors_2_2_13_2_3_2_2_wgs_52_tpt_52_halfLds_dp_op_CI_CI_unitstride_sbrr_C2R_dirReg
    .private_segment_fixed_size: 0
    .sgpr_count:     52
    .sgpr_spill_count: 0
    .symbol:         fft_rtc_back_len1248_factors_2_2_13_2_3_2_2_wgs_52_tpt_52_halfLds_dp_op_CI_CI_unitstride_sbrr_C2R_dirReg.kd
    .uniform_work_group_size: 1
    .uses_dynamic_stack: false
    .vgpr_count:     254
    .vgpr_spill_count: 0
    .wavefront_size: 64
amdhsa.target:   amdgcn-amd-amdhsa--gfx906
amdhsa.version:
  - 1
  - 2
...

	.end_amdgpu_metadata
